;; amdgpu-corpus repo=ROCm/rocFFT kind=compiled arch=gfx906 opt=O3
	.text
	.amdgcn_target "amdgcn-amd-amdhsa--gfx906"
	.amdhsa_code_object_version 6
	.protected	fft_rtc_back_len3200_factors_10_10_4_4_2_wgs_160_tpt_160_halfLds_sp_op_CI_CI_unitstride_sbrr_C2R_dirReg ; -- Begin function fft_rtc_back_len3200_factors_10_10_4_4_2_wgs_160_tpt_160_halfLds_sp_op_CI_CI_unitstride_sbrr_C2R_dirReg
	.globl	fft_rtc_back_len3200_factors_10_10_4_4_2_wgs_160_tpt_160_halfLds_sp_op_CI_CI_unitstride_sbrr_C2R_dirReg
	.p2align	8
	.type	fft_rtc_back_len3200_factors_10_10_4_4_2_wgs_160_tpt_160_halfLds_sp_op_CI_CI_unitstride_sbrr_C2R_dirReg,@function
fft_rtc_back_len3200_factors_10_10_4_4_2_wgs_160_tpt_160_halfLds_sp_op_CI_CI_unitstride_sbrr_C2R_dirReg: ; @fft_rtc_back_len3200_factors_10_10_4_4_2_wgs_160_tpt_160_halfLds_sp_op_CI_CI_unitstride_sbrr_C2R_dirReg
; %bb.0:
	s_load_dwordx4 s[8:11], s[4:5], 0x58
	s_load_dwordx4 s[12:15], s[4:5], 0x0
	;; [unrolled: 1-line block ×3, first 2 shown]
	v_mul_u32_u24_e32 v1, 0x19a, v0
	v_add_u32_sdwa v5, s6, v1 dst_sel:DWORD dst_unused:UNUSED_PAD src0_sel:DWORD src1_sel:WORD_1
	v_mov_b32_e32 v3, 0
	s_waitcnt lgkmcnt(0)
	v_cmp_lt_u64_e64 s[0:1], s[14:15], 2
	v_mov_b32_e32 v1, 0
	v_mov_b32_e32 v6, v3
	s_and_b64 vcc, exec, s[0:1]
	v_mov_b32_e32 v2, 0
	s_cbranch_vccnz .LBB0_8
; %bb.1:
	s_load_dwordx2 s[0:1], s[4:5], 0x10
	s_add_u32 s2, s18, 8
	s_addc_u32 s3, s19, 0
	s_add_u32 s6, s16, 8
	v_mov_b32_e32 v1, 0
	s_addc_u32 s7, s17, 0
	v_mov_b32_e32 v2, 0
	s_waitcnt lgkmcnt(0)
	s_add_u32 s20, s0, 8
	v_mov_b32_e32 v9, v2
	s_addc_u32 s21, s1, 0
	s_mov_b64 s[22:23], 1
	v_mov_b32_e32 v8, v1
.LBB0_2:                                ; =>This Inner Loop Header: Depth=1
	s_load_dwordx2 s[24:25], s[20:21], 0x0
                                        ; implicit-def: $vgpr12_vgpr13
	s_waitcnt lgkmcnt(0)
	v_or_b32_e32 v4, s25, v6
	v_cmp_ne_u64_e32 vcc, 0, v[3:4]
	s_and_saveexec_b64 s[0:1], vcc
	s_xor_b64 s[26:27], exec, s[0:1]
	s_cbranch_execz .LBB0_4
; %bb.3:                                ;   in Loop: Header=BB0_2 Depth=1
	v_cvt_f32_u32_e32 v4, s24
	v_cvt_f32_u32_e32 v7, s25
	s_sub_u32 s0, 0, s24
	s_subb_u32 s1, 0, s25
	v_mac_f32_e32 v4, 0x4f800000, v7
	v_rcp_f32_e32 v4, v4
	v_mul_f32_e32 v4, 0x5f7ffffc, v4
	v_mul_f32_e32 v7, 0x2f800000, v4
	v_trunc_f32_e32 v7, v7
	v_mac_f32_e32 v4, 0xcf800000, v7
	v_cvt_u32_f32_e32 v7, v7
	v_cvt_u32_f32_e32 v4, v4
	v_mul_lo_u32 v10, s0, v7
	v_mul_hi_u32 v11, s0, v4
	v_mul_lo_u32 v13, s1, v4
	v_mul_lo_u32 v12, s0, v4
	v_add_u32_e32 v10, v11, v10
	v_add_u32_e32 v10, v10, v13
	v_mul_hi_u32 v11, v4, v12
	v_mul_lo_u32 v13, v4, v10
	v_mul_hi_u32 v15, v4, v10
	v_mul_hi_u32 v14, v7, v12
	v_mul_lo_u32 v12, v7, v12
	v_mul_hi_u32 v16, v7, v10
	v_add_co_u32_e32 v11, vcc, v11, v13
	v_addc_co_u32_e32 v13, vcc, 0, v15, vcc
	v_mul_lo_u32 v10, v7, v10
	v_add_co_u32_e32 v11, vcc, v11, v12
	v_addc_co_u32_e32 v11, vcc, v13, v14, vcc
	v_addc_co_u32_e32 v12, vcc, 0, v16, vcc
	v_add_co_u32_e32 v10, vcc, v11, v10
	v_addc_co_u32_e32 v11, vcc, 0, v12, vcc
	v_add_co_u32_e32 v4, vcc, v4, v10
	v_addc_co_u32_e32 v7, vcc, v7, v11, vcc
	v_mul_lo_u32 v10, s0, v7
	v_mul_hi_u32 v11, s0, v4
	v_mul_lo_u32 v12, s1, v4
	v_mul_lo_u32 v13, s0, v4
	v_add_u32_e32 v10, v11, v10
	v_add_u32_e32 v10, v10, v12
	v_mul_lo_u32 v14, v4, v10
	v_mul_hi_u32 v15, v4, v13
	v_mul_hi_u32 v16, v4, v10
	v_mul_hi_u32 v12, v7, v13
	v_mul_lo_u32 v13, v7, v13
	v_mul_hi_u32 v11, v7, v10
	v_add_co_u32_e32 v14, vcc, v15, v14
	v_addc_co_u32_e32 v15, vcc, 0, v16, vcc
	v_mul_lo_u32 v10, v7, v10
	v_add_co_u32_e32 v13, vcc, v14, v13
	v_addc_co_u32_e32 v12, vcc, v15, v12, vcc
	v_addc_co_u32_e32 v11, vcc, 0, v11, vcc
	v_add_co_u32_e32 v10, vcc, v12, v10
	v_addc_co_u32_e32 v11, vcc, 0, v11, vcc
	v_add_co_u32_e32 v4, vcc, v4, v10
	v_addc_co_u32_e32 v7, vcc, v7, v11, vcc
	v_mad_u64_u32 v[10:11], s[0:1], v5, v7, 0
	v_mul_hi_u32 v12, v5, v4
	v_add_co_u32_e32 v14, vcc, v12, v10
	v_addc_co_u32_e32 v15, vcc, 0, v11, vcc
	v_mad_u64_u32 v[10:11], s[0:1], v6, v4, 0
	v_mad_u64_u32 v[12:13], s[0:1], v6, v7, 0
	v_add_co_u32_e32 v4, vcc, v14, v10
	v_addc_co_u32_e32 v4, vcc, v15, v11, vcc
	v_addc_co_u32_e32 v7, vcc, 0, v13, vcc
	v_add_co_u32_e32 v4, vcc, v4, v12
	v_addc_co_u32_e32 v7, vcc, 0, v7, vcc
	v_mul_lo_u32 v12, s25, v4
	v_mul_lo_u32 v13, s24, v7
	v_mad_u64_u32 v[10:11], s[0:1], s24, v4, 0
	v_add3_u32 v11, v11, v13, v12
	v_sub_u32_e32 v12, v6, v11
	v_mov_b32_e32 v13, s25
	v_sub_co_u32_e32 v10, vcc, v5, v10
	v_subb_co_u32_e64 v12, s[0:1], v12, v13, vcc
	v_subrev_co_u32_e64 v13, s[0:1], s24, v10
	v_subbrev_co_u32_e64 v12, s[0:1], 0, v12, s[0:1]
	v_cmp_le_u32_e64 s[0:1], s25, v12
	v_cndmask_b32_e64 v14, 0, -1, s[0:1]
	v_cmp_le_u32_e64 s[0:1], s24, v13
	v_cndmask_b32_e64 v13, 0, -1, s[0:1]
	v_cmp_eq_u32_e64 s[0:1], s25, v12
	v_cndmask_b32_e64 v12, v14, v13, s[0:1]
	v_add_co_u32_e64 v14, s[0:1], 2, v4
	v_addc_co_u32_e64 v13, s[0:1], 0, v7, s[0:1]
	v_add_co_u32_e64 v15, s[0:1], 1, v4
	v_addc_co_u32_e64 v16, s[0:1], 0, v7, s[0:1]
	v_subb_co_u32_e32 v11, vcc, v6, v11, vcc
	v_cmp_ne_u32_e64 s[0:1], 0, v12
	v_cmp_le_u32_e32 vcc, s25, v11
	v_cndmask_b32_e64 v12, v16, v13, s[0:1]
	v_cndmask_b32_e64 v13, 0, -1, vcc
	v_cmp_le_u32_e32 vcc, s24, v10
	v_cndmask_b32_e64 v10, 0, -1, vcc
	v_cmp_eq_u32_e32 vcc, s25, v11
	v_cndmask_b32_e32 v10, v13, v10, vcc
	v_cmp_ne_u32_e32 vcc, 0, v10
	v_cndmask_b32_e32 v13, v7, v12, vcc
	v_cndmask_b32_e64 v7, v15, v14, s[0:1]
	v_cndmask_b32_e32 v12, v4, v7, vcc
.LBB0_4:                                ;   in Loop: Header=BB0_2 Depth=1
	s_andn2_saveexec_b64 s[0:1], s[26:27]
	s_cbranch_execz .LBB0_6
; %bb.5:                                ;   in Loop: Header=BB0_2 Depth=1
	v_cvt_f32_u32_e32 v4, s24
	s_sub_i32 s26, 0, s24
	v_mov_b32_e32 v13, v3
	v_rcp_iflag_f32_e32 v4, v4
	v_mul_f32_e32 v4, 0x4f7ffffe, v4
	v_cvt_u32_f32_e32 v4, v4
	v_mul_lo_u32 v7, s26, v4
	v_mul_hi_u32 v7, v4, v7
	v_add_u32_e32 v4, v4, v7
	v_mul_hi_u32 v4, v5, v4
	v_mul_lo_u32 v7, v4, s24
	v_add_u32_e32 v10, 1, v4
	v_sub_u32_e32 v7, v5, v7
	v_subrev_u32_e32 v11, s24, v7
	v_cmp_le_u32_e32 vcc, s24, v7
	v_cndmask_b32_e32 v7, v7, v11, vcc
	v_cndmask_b32_e32 v4, v4, v10, vcc
	v_add_u32_e32 v10, 1, v4
	v_cmp_le_u32_e32 vcc, s24, v7
	v_cndmask_b32_e32 v12, v4, v10, vcc
.LBB0_6:                                ;   in Loop: Header=BB0_2 Depth=1
	s_or_b64 exec, exec, s[0:1]
	v_mul_lo_u32 v4, v13, s24
	v_mul_lo_u32 v7, v12, s25
	v_mad_u64_u32 v[10:11], s[0:1], v12, s24, 0
	s_load_dwordx2 s[0:1], s[6:7], 0x0
	s_load_dwordx2 s[24:25], s[2:3], 0x0
	v_add3_u32 v4, v11, v7, v4
	v_sub_co_u32_e32 v5, vcc, v5, v10
	v_subb_co_u32_e32 v4, vcc, v6, v4, vcc
	s_waitcnt lgkmcnt(0)
	v_mul_lo_u32 v6, s0, v4
	v_mul_lo_u32 v7, s1, v5
	v_mad_u64_u32 v[1:2], s[0:1], s0, v5, v[1:2]
	v_mul_lo_u32 v4, s24, v4
	v_mul_lo_u32 v10, s25, v5
	v_mad_u64_u32 v[8:9], s[0:1], s24, v5, v[8:9]
	s_add_u32 s22, s22, 1
	s_addc_u32 s23, s23, 0
	s_add_u32 s2, s2, 8
	v_add3_u32 v9, v10, v9, v4
	s_addc_u32 s3, s3, 0
	v_mov_b32_e32 v4, s14
	s_add_u32 s6, s6, 8
	v_mov_b32_e32 v5, s15
	s_addc_u32 s7, s7, 0
	v_cmp_ge_u64_e32 vcc, s[22:23], v[4:5]
	s_add_u32 s20, s20, 8
	v_add3_u32 v2, v7, v2, v6
	s_addc_u32 s21, s21, 0
	s_cbranch_vccnz .LBB0_9
; %bb.7:                                ;   in Loop: Header=BB0_2 Depth=1
	v_mov_b32_e32 v5, v12
	v_mov_b32_e32 v6, v13
	s_branch .LBB0_2
.LBB0_8:
	v_mov_b32_e32 v9, v2
	v_mov_b32_e32 v13, v6
	;; [unrolled: 1-line block ×4, first 2 shown]
.LBB0_9:
	s_load_dwordx2 s[4:5], s[4:5], 0x28
	s_lshl_b64 s[6:7], s[14:15], 3
	s_add_u32 s2, s18, s6
	s_addc_u32 s3, s19, s7
                                        ; implicit-def: $vgpr10
                                        ; implicit-def: $vgpr3_vgpr4
	s_waitcnt lgkmcnt(0)
	v_cmp_gt_u64_e64 s[0:1], s[4:5], v[12:13]
	v_cmp_le_u64_e32 vcc, s[4:5], v[12:13]
	s_and_saveexec_b64 s[4:5], vcc
	s_xor_b64 s[4:5], exec, s[4:5]
; %bb.10:
	s_mov_b32 s14, 0x199999a
	v_mul_hi_u32 v1, v0, s14
	v_mov_b32_e32 v11, 0
	v_mul_u32_u24_e32 v1, 0xa0, v1
	v_sub_u32_e32 v10, v0, v1
	v_mov_b32_e32 v3, v10
	v_mov_b32_e32 v4, v11
                                        ; implicit-def: $vgpr0
                                        ; implicit-def: $vgpr1_vgpr2
; %bb.11:
	s_or_saveexec_b64 s[4:5], s[4:5]
	s_load_dwordx2 s[2:3], s[2:3], 0x0
	s_xor_b64 exec, exec, s[4:5]
	s_cbranch_execz .LBB0_15
; %bb.12:
	s_add_u32 s6, s16, s6
	s_addc_u32 s7, s17, s7
	s_load_dwordx2 s[6:7], s[6:7], 0x0
	s_mov_b32 s14, 0x199999a
	v_mul_hi_u32 v5, v0, s14
	v_lshlrev_b64 v[1:2], 3, v[1:2]
	s_waitcnt lgkmcnt(0)
	v_mul_lo_u32 v6, s7, v12
	v_mul_lo_u32 v7, s6, v13
	v_mad_u64_u32 v[3:4], s[6:7], s6, v12, 0
	v_mul_u32_u24_e32 v5, 0xa0, v5
	v_sub_u32_e32 v10, v0, v5
	v_add3_u32 v4, v4, v7, v6
	v_lshlrev_b64 v[3:4], 3, v[3:4]
	v_mov_b32_e32 v0, s9
	v_add_co_u32_e32 v3, vcc, s8, v3
	v_addc_co_u32_e32 v0, vcc, v0, v4, vcc
	v_add_co_u32_e32 v1, vcc, v3, v1
	v_addc_co_u32_e32 v0, vcc, v0, v2, vcc
	v_lshlrev_b32_e32 v56, 3, v10
	v_add_co_u32_e32 v2, vcc, v1, v56
	v_addc_co_u32_e32 v3, vcc, 0, v0, vcc
	s_movk_i32 s6, 0x1000
	v_add_co_u32_e32 v6, vcc, s6, v2
	v_addc_co_u32_e32 v7, vcc, 0, v3, vcc
	s_movk_i32 s6, 0x2000
	v_add_co_u32_e32 v14, vcc, s6, v2
	global_load_dwordx2 v[4:5], v[2:3], off offset:3840
	v_addc_co_u32_e32 v15, vcc, 0, v3, vcc
	global_load_dwordx2 v[16:17], v[6:7], off offset:1024
	global_load_dwordx2 v[18:19], v[6:7], off offset:2304
	;; [unrolled: 1-line block ×4, first 2 shown]
	v_or_b32_e32 v6, 0x2800, v56
	v_add_co_u32_e32 v6, vcc, v1, v6
	s_movk_i32 s6, 0x3000
	v_addc_co_u32_e32 v7, vcc, 0, v0, vcc
	v_add_co_u32_e32 v24, vcc, s6, v2
	v_addc_co_u32_e32 v25, vcc, 0, v3, vcc
	s_movk_i32 s6, 0x4000
	global_load_dwordx2 v[26:27], v[24:25], off offset:1792
	global_load_dwordx2 v[28:29], v[24:25], off offset:512
	global_load_dwordx2 v[30:31], v[6:7], off
	global_load_dwordx2 v[32:33], v[14:15], off offset:3328
	global_load_dwordx2 v[34:35], v[2:3], off
	global_load_dwordx2 v[36:37], v[2:3], off offset:2560
	global_load_dwordx2 v[38:39], v[2:3], off offset:1280
	v_add_co_u32_e32 v6, vcc, s6, v2
	v_addc_co_u32_e32 v7, vcc, 0, v3, vcc
	v_or_b32_e32 v11, 0x5000, v56
	v_add_co_u32_e32 v14, vcc, v1, v11
	v_addc_co_u32_e32 v15, vcc, 0, v0, vcc
	v_add_co_u32_e32 v2, vcc, 0x5000, v2
	v_addc_co_u32_e32 v3, vcc, 0, v3, vcc
	global_load_dwordx2 v[40:41], v[24:25], off offset:3072
	global_load_dwordx2 v[42:43], v[6:7], off offset:256
	;; [unrolled: 1-line block ×4, first 2 shown]
	global_load_dwordx2 v[48:49], v[14:15], off
	global_load_dwordx2 v[50:51], v[2:3], off offset:1280
	global_load_dwordx2 v[52:53], v[2:3], off offset:2560
	;; [unrolled: 1-line block ×3, first 2 shown]
	v_add_u32_e32 v2, 0, v56
	v_add_u32_e32 v3, 0x800, v2
	;; [unrolled: 1-line block ×8, first 2 shown]
	v_mov_b32_e32 v11, 0
	s_movk_i32 s6, 0x9f
	v_cmp_eq_u32_e32 vcc, s6, v10
	s_waitcnt vmcnt(9)
	ds_write2_b64 v3, v[36:37], v[4:5] offset0:64 offset1:224
	s_waitcnt vmcnt(8)
	ds_write2_b64 v2, v[34:35], v[38:39] offset1:160
	ds_write2_b64 v6, v[16:17], v[18:19] offset1:160
	ds_write2_b64 v7, v[20:21], v[22:23] offset0:64 offset1:224
	ds_write2_b64 v14, v[30:31], v[32:33] offset1:160
	ds_write2_b64 v15, v[28:29], v[26:27] offset0:64 offset1:224
	s_waitcnt vmcnt(6)
	ds_write2_b64 v24, v[40:41], v[42:43] offset1:160
	s_waitcnt vmcnt(4)
	ds_write2_b64 v25, v[44:45], v[46:47] offset0:64 offset1:224
	v_add_u32_e32 v3, 0x5000, v2
	s_waitcnt vmcnt(2)
	ds_write2_b64 v3, v[48:49], v[50:51] offset1:160
	v_mov_b32_e32 v3, v10
	v_add_u32_e32 v2, 0x5800, v2
	v_mov_b32_e32 v4, v11
	s_waitcnt vmcnt(0)
	ds_write2_b64 v2, v[52:53], v[54:55] offset0:64 offset1:224
	s_and_saveexec_b64 s[6:7], vcc
	s_cbranch_execz .LBB0_14
; %bb.13:
	v_add_co_u32_e32 v1, vcc, 0x6000, v1
	v_addc_co_u32_e32 v2, vcc, 0, v0, vcc
	global_load_dwordx2 v[0:1], v[1:2], off offset:1024
	v_mov_b32_e32 v3, 0x9f
	v_mov_b32_e32 v4, 0
	v_mov_b32_e32 v10, 0x9f
	s_waitcnt vmcnt(0)
	ds_write_b64 v11, v[0:1] offset:25600
.LBB0_14:
	s_or_b64 exec, exec, s[6:7]
.LBB0_15:
	s_or_b64 exec, exec, s[4:5]
	v_lshlrev_b32_e32 v0, 3, v10
	v_add_u32_e32 v20, 0, v0
	s_waitcnt lgkmcnt(0)
	s_barrier
	v_sub_u32_e32 v2, 0, v0
	ds_read_b32 v5, v20
	ds_read_b32 v6, v2 offset:25600
	s_add_u32 s6, s12, 0x63b0
	v_lshlrev_b64 v[14:15], 3, v[3:4]
	s_addc_u32 s7, s13, 0
	v_cmp_ne_u32_e32 vcc, 0, v10
	s_waitcnt lgkmcnt(0)
	v_add_f32_e32 v0, v6, v5
	v_sub_f32_e32 v1, v5, v6
	s_and_saveexec_b64 s[4:5], vcc
	s_xor_b64 s[4:5], exec, s[4:5]
	s_cbranch_execz .LBB0_17
; %bb.16:
	v_mov_b32_e32 v1, s7
	v_add_co_u32_e32 v0, vcc, s6, v14
	v_addc_co_u32_e32 v1, vcc, v1, v15, vcc
	global_load_dwordx2 v[3:4], v[0:1], off
	ds_read_b32 v0, v2 offset:25604
	ds_read_b32 v1, v20 offset:4
	v_add_f32_e32 v7, v6, v5
	v_sub_f32_e32 v11, v5, v6
	s_waitcnt lgkmcnt(0)
	v_add_f32_e32 v16, v0, v1
	v_sub_f32_e32 v0, v1, v0
	s_waitcnt vmcnt(0)
	v_fma_f32 v5, -v11, v4, v7
	v_fma_f32 v6, v16, v4, -v0
	v_fma_f32 v17, v11, v4, v7
	v_fma_f32 v1, v16, v4, v0
	v_fmac_f32_e32 v5, v3, v16
	v_fmac_f32_e32 v6, v11, v3
	v_fma_f32 v0, -v3, v16, v17
	v_fmac_f32_e32 v1, v11, v3
	ds_write_b64 v2, v[5:6] offset:25600
.LBB0_17:
	s_andn2_saveexec_b64 s[4:5], s[4:5]
	s_cbranch_execz .LBB0_19
; %bb.18:
	v_mov_b32_e32 v5, 0
	ds_read_b64 v[3:4], v5 offset:12800
	s_waitcnt lgkmcnt(0)
	v_add_f32_e32 v3, v3, v3
	v_mul_f32_e32 v4, -2.0, v4
	ds_write_b64 v5, v[3:4] offset:12800
.LBB0_19:
	s_or_b64 exec, exec, s[4:5]
	v_mov_b32_e32 v11, 0
	v_lshlrev_b64 v[16:17], 3, v[10:11]
	v_mov_b32_e32 v4, s7
	v_add_co_u32_e32 v3, vcc, s6, v16
	v_addc_co_u32_e32 v4, vcc, v4, v17, vcc
	global_load_dwordx2 v[5:6], v[3:4], off offset:1280
	global_load_dwordx2 v[21:22], v[3:4], off offset:2560
	;; [unrolled: 1-line block ×3, first 2 shown]
	s_movk_i32 s4, 0x1000
	v_add_co_u32_e32 v25, vcc, s4, v3
	v_addc_co_u32_e32 v26, vcc, 0, v4, vcc
	global_load_dwordx2 v[27:28], v[25:26], off offset:1024
	ds_write_b64 v20, v[0:1]
	ds_read_b64 v[0:1], v20 offset:1280
	ds_read_b64 v[18:19], v2 offset:24320
	global_load_dwordx2 v[31:32], v[25:26], off offset:2304
	v_or_b32_e32 v29, 0x500, v10
	s_movk_i32 s5, 0x2000
	v_add_co_u32_e32 v3, vcc, s5, v3
	s_waitcnt lgkmcnt(0)
	v_add_f32_e32 v7, v0, v18
	v_add_f32_e32 v30, v19, v1
	v_sub_f32_e32 v18, v0, v18
	v_sub_f32_e32 v19, v1, v19
	v_addc_co_u32_e32 v4, vcc, 0, v4, vcc
	s_movk_i32 s5, 0x48
	v_mad_u32_u24 v90, v10, s5, v20
	v_add_u32_e32 v91, 0x3200, v90
	s_movk_i32 s5, 0xcd
	s_waitcnt vmcnt(4)
	v_fma_f32 v33, v18, v6, v7
	v_fma_f32 v0, -v18, v6, v7
	v_fma_f32 v7, v30, v6, v19
	v_fma_f32 v1, v30, v6, -v19
	v_fma_f32 v6, -v5, v30, v33
	v_fmac_f32_e32 v7, v18, v5
	v_fmac_f32_e32 v0, v5, v30
	;; [unrolled: 1-line block ×3, first 2 shown]
	ds_write_b64 v20, v[6:7] offset:1280
	ds_write_b64 v2, v[0:1] offset:24320
	ds_read_b64 v[0:1], v20 offset:2560
	ds_read_b64 v[5:6], v2 offset:23040
	global_load_dwordx2 v[25:26], v[25:26], off offset:3584
	v_mov_b32_e32 v30, v11
	v_lshlrev_b64 v[18:19], 3, v[29:30]
	v_mov_b32_e32 v7, s7
	s_waitcnt lgkmcnt(0)
	v_add_f32_e32 v29, v0, v5
	v_add_f32_e32 v30, v6, v1
	v_sub_f32_e32 v33, v0, v5
	v_sub_f32_e32 v5, v1, v6
	s_waitcnt vmcnt(4)
	v_fma_f32 v34, v33, v22, v29
	v_fma_f32 v6, v30, v22, v5
	v_fma_f32 v0, -v33, v22, v29
	v_fma_f32 v1, v30, v22, -v5
	v_fma_f32 v5, -v21, v30, v34
	v_fmac_f32_e32 v6, v33, v21
	v_fmac_f32_e32 v0, v21, v30
	;; [unrolled: 1-line block ×3, first 2 shown]
	ds_write_b64 v20, v[5:6] offset:2560
	ds_write_b64 v2, v[0:1] offset:23040
	ds_read_b64 v[0:1], v20 offset:3840
	ds_read_b64 v[5:6], v2 offset:21760
	global_load_dwordx2 v[21:22], v[3:4], off offset:768
	s_waitcnt lgkmcnt(0)
	v_add_f32_e32 v29, v0, v5
	v_add_f32_e32 v30, v6, v1
	v_sub_f32_e32 v33, v0, v5
	v_sub_f32_e32 v5, v1, v6
	s_waitcnt vmcnt(4)
	v_fma_f32 v34, v33, v24, v29
	v_fma_f32 v0, -v33, v24, v29
	v_fma_f32 v1, v30, v24, -v5
	v_fma_f32 v6, v30, v24, v5
	v_fma_f32 v5, -v23, v30, v34
	v_fmac_f32_e32 v0, v23, v30
	v_fmac_f32_e32 v6, v33, v23
	;; [unrolled: 1-line block ×3, first 2 shown]
	v_add_co_u32_e32 v23, vcc, s6, v18
	ds_write_b64 v20, v[5:6] offset:3840
	ds_write_b64 v2, v[0:1] offset:21760
	v_addc_co_u32_e32 v24, vcc, v7, v19, vcc
	ds_read_b64 v[0:1], v20 offset:5120
	ds_read_b64 v[5:6], v2 offset:20480
	global_load_dwordx2 v[23:24], v[23:24], off
	s_waitcnt lgkmcnt(0)
	v_add_f32_e32 v7, v0, v5
	v_add_f32_e32 v29, v6, v1
	v_sub_f32_e32 v30, v0, v5
	v_sub_f32_e32 v5, v1, v6
	s_waitcnt vmcnt(4)
	v_fma_f32 v33, v30, v28, v7
	v_fma_f32 v6, v29, v28, v5
	v_fma_f32 v0, -v30, v28, v7
	v_fma_f32 v1, v29, v28, -v5
	v_fma_f32 v5, -v27, v29, v33
	v_fmac_f32_e32 v6, v30, v27
	v_fmac_f32_e32 v0, v27, v29
	;; [unrolled: 1-line block ×3, first 2 shown]
	ds_write_b64 v20, v[5:6] offset:5120
	ds_write_b64 v2, v[0:1] offset:20480
	ds_read_b64 v[0:1], v20 offset:6400
	ds_read_b64 v[5:6], v2 offset:19200
	global_load_dwordx2 v[3:4], v[3:4], off offset:3328
	s_waitcnt lgkmcnt(0)
	v_add_f32_e32 v7, v0, v5
	v_add_f32_e32 v27, v6, v1
	v_sub_f32_e32 v28, v0, v5
	v_sub_f32_e32 v5, v1, v6
	s_waitcnt vmcnt(4)
	v_fma_f32 v29, v28, v32, v7
	v_fma_f32 v6, v27, v32, v5
	v_fma_f32 v0, -v28, v32, v7
	v_fma_f32 v1, v27, v32, -v5
	v_fma_f32 v5, -v31, v27, v29
	v_fmac_f32_e32 v6, v28, v31
	v_fmac_f32_e32 v0, v31, v27
	;; [unrolled: 1-line block ×3, first 2 shown]
	ds_write_b64 v20, v[5:6] offset:6400
	ds_write_b64 v2, v[0:1] offset:19200
	ds_read_b64 v[0:1], v20 offset:7680
	ds_read_b64 v[5:6], v2 offset:17920
	s_waitcnt lgkmcnt(0)
	v_add_f32_e32 v7, v0, v5
	v_add_f32_e32 v27, v6, v1
	v_sub_f32_e32 v28, v0, v5
	v_sub_f32_e32 v5, v1, v6
	s_waitcnt vmcnt(3)
	v_fma_f32 v29, v28, v26, v7
	v_fma_f32 v6, v27, v26, v5
	v_fma_f32 v0, -v28, v26, v7
	v_fma_f32 v1, v27, v26, -v5
	v_fma_f32 v5, -v25, v27, v29
	v_fmac_f32_e32 v6, v28, v25
	v_fmac_f32_e32 v0, v25, v27
	;; [unrolled: 1-line block ×3, first 2 shown]
	ds_write_b64 v20, v[5:6] offset:7680
	ds_write_b64 v2, v[0:1] offset:17920
	ds_read_b64 v[0:1], v20 offset:8960
	ds_read_b64 v[5:6], v2 offset:16640
	v_add_u32_e32 v28, 0x3000, v20
	s_waitcnt lgkmcnt(0)
	v_add_f32_e32 v7, v0, v5
	v_add_f32_e32 v25, v6, v1
	v_sub_f32_e32 v26, v0, v5
	v_sub_f32_e32 v0, v1, v6
	s_waitcnt vmcnt(2)
	v_fma_f32 v27, v26, v22, v7
	v_fma_f32 v1, v25, v22, v0
	v_fma_f32 v5, -v26, v22, v7
	v_fma_f32 v6, v25, v22, -v0
	v_fma_f32 v0, -v21, v25, v27
	v_fmac_f32_e32 v1, v26, v21
	v_fmac_f32_e32 v5, v21, v25
	;; [unrolled: 1-line block ×3, first 2 shown]
	ds_write_b64 v20, v[0:1] offset:8960
	ds_write_b64 v2, v[5:6] offset:16640
	ds_read_b64 v[0:1], v20 offset:10240
	ds_read_b64 v[5:6], v2 offset:15360
	v_add_u32_e32 v22, 0x5000, v20
	v_add_u32_e32 v27, 0x4400, v20
	s_waitcnt lgkmcnt(0)
	v_add_f32_e32 v7, v0, v5
	v_add_f32_e32 v21, v6, v1
	v_sub_f32_e32 v5, v0, v5
	v_sub_f32_e32 v6, v1, v6
	s_waitcnt vmcnt(1)
	v_fma_f32 v0, v5, v24, v7
	v_fma_f32 v1, v21, v24, v6
	v_fma_f32 v0, -v23, v21, v0
	v_fmac_f32_e32 v1, v5, v23
	ds_write_b64 v20, v[0:1] offset:10240
	v_fma_f32 v0, -v5, v24, v7
	v_fma_f32 v1, v21, v24, -v6
	v_fmac_f32_e32 v0, v23, v21
	v_fmac_f32_e32 v1, v5, v23
	ds_write_b64 v2, v[0:1] offset:15360
	ds_read_b64 v[0:1], v20 offset:11520
	ds_read_b64 v[5:6], v2 offset:14080
	v_add_u32_e32 v23, 0x1400, v20
	v_add_u32_e32 v24, 0x3c00, v20
	s_waitcnt lgkmcnt(0)
	v_add_f32_e32 v7, v0, v5
	v_add_f32_e32 v21, v6, v1
	v_sub_f32_e32 v5, v0, v5
	v_sub_f32_e32 v6, v1, v6
	s_waitcnt vmcnt(0)
	v_fma_f32 v0, v5, v4, v7
	v_fma_f32 v1, v21, v4, v6
	v_fma_f32 v0, -v3, v21, v0
	v_fmac_f32_e32 v1, v5, v3
	ds_write_b64 v20, v[0:1] offset:11520
	v_fma_f32 v0, -v5, v4, v7
	v_fma_f32 v1, v21, v4, -v6
	v_fmac_f32_e32 v0, v3, v21
	v_fmac_f32_e32 v1, v5, v3
	v_add_u32_e32 v21, 0x2800, v20
	ds_write_b64 v2, v[0:1] offset:14080
	s_waitcnt lgkmcnt(0)
	s_barrier
	s_barrier
	ds_read2_b64 v[0:3], v23 offset1:160
	ds_read2_b64 v[4:7], v21 offset1:160
	;; [unrolled: 1-line block ×4, first 2 shown]
	s_waitcnt lgkmcnt(2)
	v_sub_f32_e32 v25, v2, v6
	s_waitcnt lgkmcnt(0)
	v_sub_f32_e32 v26, v36, v32
	v_add_f32_e32 v66, v25, v26
	v_add_u32_e32 v26, 0x1c00, v20
	v_add_u32_e32 v25, 0x5800, v20
	ds_read2_b64 v[38:41], v26 offset0:64 offset1:224
	ds_read2_b64 v[42:45], v28 offset0:64 offset1:224
	;; [unrolled: 1-line block ×4, first 2 shown]
	v_sub_f32_e32 v29, v3, v7
	v_sub_f32_e32 v54, v37, v33
	v_add_f32_e32 v67, v29, v54
	s_waitcnt lgkmcnt(2)
	v_sub_f32_e32 v29, v40, v44
	s_waitcnt lgkmcnt(0)
	v_sub_f32_e32 v54, v52, v48
	v_add_f32_e32 v68, v29, v54
	v_add_u32_e32 v29, 0x800, v20
	ds_read2_b64 v[54:57], v29 offset0:64 offset1:224
	v_sub_f32_e32 v58, v41, v45
	v_sub_f32_e32 v59, v53, v49
	v_add_f32_e32 v69, v58, v59
	v_add_f32_e32 v58, v44, v48
	s_waitcnt lgkmcnt(0)
	v_fma_f32 v70, -0.5, v58, v56
	v_add_f32_e32 v58, v45, v49
	v_fma_f32 v73, -0.5, v58, v57
	v_sub_f32_e32 v74, v40, v52
	v_mov_b32_e32 v63, v73
	ds_read2_b64 v[58:61], v20 offset1:160
	v_sub_f32_e32 v71, v41, v53
	v_mov_b32_e32 v62, v70
	v_fmac_f32_e32 v63, 0x3f737871, v74
	v_sub_f32_e32 v75, v44, v48
	v_fmac_f32_e32 v62, 0xbf737871, v71
	v_sub_f32_e32 v72, v45, v49
	v_fmac_f32_e32 v63, 0x3f167918, v75
	v_fmac_f32_e32 v62, 0xbf167918, v72
	;; [unrolled: 1-line block ×4, first 2 shown]
	v_mul_f32_e32 v76, 0xbf167918, v63
	v_fmac_f32_e32 v76, 0x3f4f1bbd, v62
	v_mul_f32_e32 v77, 0x3f167918, v62
	s_waitcnt lgkmcnt(0)
	v_add_f32_e32 v62, v60, v2
	v_add_f32_e32 v62, v62, v6
	;; [unrolled: 1-line block ×5, first 2 shown]
	v_fma_f32 v79, -0.5, v62, v60
	v_add_f32_e32 v62, v61, v3
	v_add_f32_e32 v62, v62, v7
	;; [unrolled: 1-line block ×3, first 2 shown]
	v_sub_f32_e32 v85, v2, v36
	v_sub_f32_e32 v87, v6, v32
	;; [unrolled: 1-line block ×4, first 2 shown]
	v_add_f32_e32 v2, v2, v36
	v_add_f32_e32 v83, v62, v37
	;; [unrolled: 1-line block ×4, first 2 shown]
	v_fma_f32 v32, -0.5, v2, v60
	v_add_f32_e32 v2, v3, v37
	v_fma_f32 v84, -0.5, v62, v61
	v_fmac_f32_e32 v61, -0.5, v2
	v_sub_f32_e32 v80, v3, v37
	v_sub_f32_e32 v82, v7, v33
	;; [unrolled: 1-line block ×4, first 2 shown]
	v_mov_b32_e32 v33, v61
	v_fmac_f32_e32 v33, 0xbf737871, v87
	v_fmac_f32_e32 v61, 0x3f737871, v87
	v_add_f32_e32 v2, v2, v3
	v_fmac_f32_e32 v33, 0x3f167918, v85
	v_fmac_f32_e32 v61, 0xbf167918, v85
	v_mov_b32_e32 v36, v32
	v_fmac_f32_e32 v33, 0x3e9e377a, v2
	v_fmac_f32_e32 v61, 0x3e9e377a, v2
	v_sub_f32_e32 v2, v44, v40
	v_sub_f32_e32 v3, v48, v52
	v_fmac_f32_e32 v36, 0x3f737871, v82
	v_fmac_f32_e32 v32, 0xbf737871, v82
	v_add_f32_e32 v2, v2, v3
	v_add_f32_e32 v3, v40, v52
	v_fmac_f32_e32 v36, 0xbf167918, v80
	v_fmac_f32_e32 v32, 0x3f167918, v80
	v_fma_f32 v3, -0.5, v3, v56
	v_fmac_f32_e32 v36, 0x3e9e377a, v6
	v_fmac_f32_e32 v32, 0x3e9e377a, v6
	v_mov_b32_e32 v6, v3
	v_add_f32_e32 v62, v56, v40
	v_fmac_f32_e32 v6, 0x3f737871, v72
	v_fmac_f32_e32 v3, 0xbf737871, v72
	v_add_f32_e32 v62, v62, v44
	v_fmac_f32_e32 v6, 0xbf167918, v71
	v_fmac_f32_e32 v3, 0x3f167918, v71
	;; [unrolled: 3-line block ×3, first 2 shown]
	v_add_f32_e32 v2, v41, v53
	v_add_f32_e32 v88, v62, v52
	;; [unrolled: 1-line block ×3, first 2 shown]
	v_fmac_f32_e32 v57, -0.5, v2
	v_sub_f32_e32 v2, v45, v41
	v_sub_f32_e32 v7, v49, v53
	v_add_f32_e32 v2, v2, v7
	v_mov_b32_e32 v7, v57
	v_fmac_f32_e32 v7, 0xbf737871, v75
	v_fmac_f32_e32 v57, 0x3f737871, v75
	;; [unrolled: 1-line block ×6, first 2 shown]
	v_mul_f32_e32 v37, 0xbf737871, v7
	v_mul_f32_e32 v40, 0x3e9e377a, v7
	;; [unrolled: 1-line block ×4, first 2 shown]
	v_fmac_f32_e32 v73, 0xbf737871, v74
	v_fmac_f32_e32 v37, 0x3e9e377a, v6
	;; [unrolled: 1-line block ×7, first 2 shown]
	v_mov_b32_e32 v81, v79
	v_mov_b32_e32 v86, v84
	v_add_f32_e32 v62, v62, v45
	v_add_f32_e32 v2, v36, v37
	;; [unrolled: 1-line block ×5, first 2 shown]
	v_add_u32_e32 v45, 0x3210, v90
	v_fmac_f32_e32 v79, 0x3f737871, v80
	v_fmac_f32_e32 v84, 0xbf737871, v85
	;; [unrolled: 1-line block ×6, first 2 shown]
	v_add_f32_e32 v62, v62, v49
	s_barrier
	ds_write2_b64 v45, v[2:3], v[6:7] offset1:1
	v_fmac_f32_e32 v79, 0x3f167918, v82
	v_fmac_f32_e32 v84, 0xbf167918, v87
	;; [unrolled: 1-line block ×3, first 2 shown]
	v_mul_f32_e32 v45, 0xbf167918, v73
	v_mul_f32_e32 v48, 0xbf4f1bbd, v73
	v_fmac_f32_e32 v81, 0xbf167918, v82
	v_fmac_f32_e32 v86, 0x3f167918, v87
	v_add_f32_e32 v89, v62, v53
	v_fmac_f32_e32 v79, 0x3e9e377a, v66
	v_fmac_f32_e32 v84, 0x3e9e377a, v67
	;; [unrolled: 1-line block ×7, first 2 shown]
	v_sub_f32_e32 v2, v78, v88
	v_sub_f32_e32 v3, v83, v89
	v_add_f32_e32 v6, v79, v45
	v_add_f32_e32 v7, v84, v48
	v_add_u32_e32 v49, 0x3220, v90
	ds_write2_b64 v49, v[6:7], v[2:3] offset1:1
	v_sub_f32_e32 v2, v81, v76
	v_sub_f32_e32 v3, v86, v77
	v_sub_f32_e32 v6, v36, v37
	v_sub_f32_e32 v7, v33, v40
	v_add_u32_e32 v33, 0x3230, v90
	ds_write2_b64 v33, v[2:3], v[6:7] offset1:1
	v_add_f32_e32 v2, v58, v0
	v_add_f32_e32 v3, v59, v1
	;; [unrolled: 1-line block ×4, first 2 shown]
	v_sub_f32_e32 v7, v5, v31
	v_sub_f32_e32 v33, v0, v4
	;; [unrolled: 1-line block ×3, first 2 shown]
	v_add_f32_e32 v37, v5, v31
	v_sub_f32_e32 v40, v1, v5
	v_sub_f32_e32 v5, v5, v1
	;; [unrolled: 1-line block ×3, first 2 shown]
	v_add_f32_e32 v52, v0, v34
	v_sub_f32_e32 v53, v0, v34
	v_add_f32_e32 v56, v1, v35
	v_add_f32_e32 v0, v2, v30
	;; [unrolled: 1-line block ×8, first 2 shown]
	v_sub_f32_e32 v4, v4, v30
	v_sub_f32_e32 v2, v34, v30
	;; [unrolled: 1-line block ×5, first 2 shown]
	v_add_f32_e32 v34, v0, v34
	v_add_f32_e32 v35, v1, v35
	;; [unrolled: 1-line block ×4, first 2 shown]
	ds_write2_b64 v91, v[62:63], v[64:65] offset1:1
	v_add_f32_e32 v0, v0, v42
	v_add_f32_e32 v1, v1, v43
	;; [unrolled: 1-line block ×6, first 2 shown]
	v_fma_f32 v57, -0.5, v57, v54
	v_fma_f32 v64, -0.5, v64, v55
	v_sub_f32_e32 v60, v43, v47
	v_sub_f32_e32 v62, v38, v42
	;; [unrolled: 1-line block ×7, first 2 shown]
	v_add_f32_e32 v67, v38, v50
	v_sub_f32_e32 v38, v38, v50
	v_add_f32_e32 v39, v39, v51
	v_sub_f32_e32 v68, v50, v46
	v_sub_f32_e32 v46, v46, v50
	;; [unrolled: 1-line block ×4, first 2 shown]
	v_add_f32_e32 v50, v0, v50
	v_add_f32_e32 v51, v1, v51
	v_mov_b32_e32 v0, v57
	v_mov_b32_e32 v1, v64
	v_fmac_f32_e32 v0, 0xbf737871, v66
	v_fmac_f32_e32 v1, 0x3f737871, v38
	v_fma_f32 v6, -0.5, v6, v58
	v_fma_f32 v37, -0.5, v37, v59
	;; [unrolled: 1-line block ×3, first 2 shown]
	v_add_f32_e32 v55, v62, v68
	v_add_f32_e32 v62, v65, v69
	v_fmac_f32_e32 v0, 0xbf167918, v60
	v_fmac_f32_e32 v1, 0x3f167918, v42
	v_mov_b32_e32 v68, v6
	v_mov_b32_e32 v69, v37
	v_fmac_f32_e32 v0, 0x3e9e377a, v55
	v_fmac_f32_e32 v1, 0x3e9e377a, v62
	;; [unrolled: 1-line block ×4, first 2 shown]
	v_fma_f32 v54, -0.5, v67, v54
	v_add_f32_e32 v33, v33, v2
	v_add_f32_e32 v40, v40, v3
	v_mul_f32_e32 v65, 0xbf167918, v1
	v_mul_f32_e32 v67, 0x3f167918, v0
	v_fmac_f32_e32 v68, 0xbf167918, v7
	v_fmac_f32_e32 v69, 0x3f167918, v4
	;; [unrolled: 1-line block ×6, first 2 shown]
	v_add_f32_e32 v0, v34, v50
	v_add_f32_e32 v1, v35, v51
	;; [unrolled: 1-line block ×4, first 2 shown]
	ds_write2_b64 v90, v[0:1], v[2:3] offset1:1
	v_add_f32_e32 v0, v36, v30
	v_fma_f32 v30, -0.5, v52, v58
	v_mov_b32_e32 v36, v30
	v_fmac_f32_e32 v36, 0x3f737871, v7
	v_fmac_f32_e32 v30, 0xbf737871, v7
	;; [unrolled: 1-line block ×6, first 2 shown]
	v_add_f32_e32 v0, v5, v31
	v_fma_f32 v5, -0.5, v56, v59
	v_mov_b32_e32 v31, v5
	v_fmac_f32_e32 v31, 0xbf737871, v4
	v_fmac_f32_e32 v5, 0x3f737871, v4
	v_mov_b32_e32 v1, v54
	v_fmac_f32_e32 v31, 0x3f167918, v53
	v_fmac_f32_e32 v5, 0xbf167918, v53
	v_fmac_f32_e32 v1, 0x3f737871, v60
	v_fmac_f32_e32 v54, 0xbf737871, v60
	v_mov_b32_e32 v2, v39
	v_fmac_f32_e32 v31, 0x3e9e377a, v0
	v_fmac_f32_e32 v5, 0x3e9e377a, v0
	v_add_f32_e32 v0, v63, v46
	v_fmac_f32_e32 v1, 0xbf167918, v66
	v_fmac_f32_e32 v54, 0x3f167918, v66
	v_fmac_f32_e32 v2, 0xbf737871, v42
	v_fmac_f32_e32 v39, 0x3f737871, v42
	v_fmac_f32_e32 v1, 0x3e9e377a, v0
	v_fmac_f32_e32 v54, 0x3e9e377a, v0
	v_add_f32_e32 v0, v43, v47
	v_fmac_f32_e32 v2, 0x3f167918, v38
	v_fmac_f32_e32 v39, 0xbf167918, v38
	;; [unrolled: 1-line block ×7, first 2 shown]
	v_mul_f32_e32 v43, 0xbf737871, v2
	v_mul_f32_e32 v46, 0x3e9e377a, v2
	;; [unrolled: 1-line block ×4, first 2 shown]
	v_fmac_f32_e32 v6, 0x3f737871, v49
	v_fmac_f32_e32 v37, 0xbf737871, v53
	;; [unrolled: 1-line block ×11, first 2 shown]
	v_mul_f32_e32 v4, 0xbf167918, v64
	v_mul_f32_e32 v7, 0xbf4f1bbd, v64
	v_add_f32_e32 v0, v36, v43
	v_add_f32_e32 v1, v31, v46
	;; [unrolled: 1-line block ×4, first 2 shown]
	v_fmac_f32_e32 v6, 0x3e9e377a, v33
	v_fmac_f32_e32 v37, 0x3e9e377a, v40
	;; [unrolled: 1-line block ×4, first 2 shown]
	ds_write2_b64 v90, v[0:1], v[2:3] offset0:2 offset1:3
	v_sub_f32_e32 v0, v34, v50
	v_sub_f32_e32 v1, v35, v51
	v_add_f32_e32 v2, v6, v4
	v_add_f32_e32 v3, v37, v7
	ds_write2_b64 v90, v[2:3], v[0:1] offset0:4 offset1:5
	v_sub_f32_e32 v0, v68, v65
	v_sub_f32_e32 v1, v69, v67
	v_sub_f32_e32 v2, v36, v43
	v_sub_f32_e32 v3, v31, v46
	ds_write2_b64 v90, v[0:1], v[2:3] offset0:6 offset1:7
	v_sub_f32_e32 v0, v30, v47
	v_sub_f32_e32 v1, v5, v39
	v_sub_f32_e32 v2, v6, v4
	v_sub_f32_e32 v3, v37, v7
	;; [unrolled: 5-line block ×3, first 2 shown]
	v_add_u32_e32 v4, 0x3240, v90
	ds_write2_b64 v4, v[0:1], v[2:3] offset1:1
	v_mul_lo_u16_sdwa v0, v10, s5 dst_sel:DWORD dst_unused:UNUSED_PAD src0_sel:BYTE_0 src1_sel:DWORD
	v_lshrrev_b16_e32 v43, 11, v0
	v_mul_lo_u16_e32 v0, 10, v43
	v_sub_u16_e32 v44, v10, v0
	v_mov_b32_e32 v0, 9
	v_mul_u32_u24_sdwa v0, v44, v0 dst_sel:DWORD dst_unused:UNUSED_PAD src0_sel:BYTE_0 src1_sel:DWORD
	v_lshlrev_b32_e32 v7, 3, v0
	s_waitcnt lgkmcnt(0)
	s_barrier
	global_load_dwordx4 v[3:6], v7, s[12:13]
	s_mov_b32 s5, 0xcccd
	v_add_u32_e32 v0, 0xa0, v10
	v_mul_u32_u24_sdwa v1, v0, s5 dst_sel:DWORD dst_unused:UNUSED_PAD src0_sel:WORD_0 src1_sel:DWORD
	v_lshrrev_b32_e32 v1, 19, v1
	v_mul_lo_u16_e32 v2, 10, v1
	v_sub_u16_e32 v2, v0, v2
	v_mul_u32_u24_e32 v30, 9, v2
	v_lshlrev_b32_e32 v42, 3, v30
	global_load_dwordx4 v[30:33], v42, s[12:13]
	global_load_dwordx4 v[34:37], v7, s[12:13] offset:16
	global_load_dwordx4 v[38:41], v42, s[12:13] offset:16
	;; [unrolled: 1-line block ×6, first 2 shown]
	global_load_dwordx2 v[81:82], v7, s[12:13] offset:64
	global_load_dwordx2 v[83:84], v42, s[12:13] offset:64
	ds_read2_b64 v[50:53], v29 offset0:64 offset1:224
	ds_read2_b64 v[73:76], v23 offset1:160
	ds_read2_b64 v[77:80], v26 offset0:64 offset1:224
	v_mul_u32_u24_e32 v43, 0x320, v43
	v_mul_u32_u24_e32 v1, 0x320, v1
	v_lshlrev_b32_e32 v2, 3, v2
	s_movk_i32 s5, 0x64
	v_cmp_gt_u32_e32 vcc, s5, v10
	s_movk_i32 s5, 0x63
	s_waitcnt vmcnt(9) lgkmcnt(2)
	v_mul_f32_e32 v45, v4, v51
	v_mul_f32_e32 v4, v4, v50
	v_fmac_f32_e32 v45, v3, v50
	v_fma_f32 v46, v3, v51, -v4
	s_waitcnt lgkmcnt(1)
	v_mul_f32_e32 v51, v6, v74
	v_mul_f32_e32 v3, v6, v73
	v_fmac_f32_e32 v51, v5, v73
	v_fma_f32 v49, v5, v74, -v3
	s_waitcnt vmcnt(8)
	v_mul_f32_e32 v3, v53, v31
	v_mul_f32_e32 v4, v52, v31
	;; [unrolled: 1-line block ×4, first 2 shown]
	v_fmac_f32_e32 v31, v75, v32
	v_fma_f32 v7, v76, v32, -v5
	ds_read2_b64 v[73:76], v21 offset1:160
	s_waitcnt vmcnt(7) lgkmcnt(1)
	v_mul_f32_e32 v5, v35, v77
	v_fma_f32 v47, v34, v78, -v5
	v_fma_f32 v4, v53, v30, -v4
	s_waitcnt vmcnt(6)
	v_mul_f32_e32 v6, v80, v39
	s_waitcnt lgkmcnt(0)
	v_mul_f32_e32 v5, v73, v37
	v_mul_f32_e32 v55, v74, v37
	v_fma_f32 v53, v74, v36, -v5
	v_mul_f32_e32 v5, v79, v39
	v_fmac_f32_e32 v3, v52, v30
	v_mul_f32_e32 v48, v35, v78
	v_fmac_f32_e32 v55, v73, v36
	v_fmac_f32_e32 v6, v79, v38
	v_fma_f32 v5, v80, v38, -v5
	v_mul_f32_e32 v35, v76, v41
	ds_read2_b64 v[36:39], v28 offset0:64 offset1:224
	v_mul_f32_e32 v30, v75, v41
	v_fmac_f32_e32 v35, v75, v40
	v_fma_f32 v33, v76, v40, -v30
	ds_read2_b64 v[73:76], v24 offset1:160
	s_waitcnt vmcnt(5) lgkmcnt(1)
	v_mul_f32_e32 v30, v36, v57
	v_fma_f32 v50, v37, v56, -v30
	v_fmac_f32_e32 v48, v34, v77
	s_waitcnt vmcnt(4)
	v_mul_f32_e32 v32, v39, v62
	s_waitcnt lgkmcnt(0)
	v_mul_f32_e32 v60, v74, v59
	v_mul_f32_e32 v30, v73, v59
	v_fmac_f32_e32 v60, v73, v58
	v_fma_f32 v58, v74, v58, -v30
	v_mul_f32_e32 v30, v38, v62
	v_fma_f32 v30, v39, v61, -v30
	v_mul_f32_e32 v39, v76, v64
	ds_read2_b64 v[77:80], v27 offset0:64 offset1:224
	v_mul_f32_e32 v34, v75, v64
	v_mul_f32_e32 v52, v37, v57
	v_fmac_f32_e32 v32, v38, v61
	v_fmac_f32_e32 v39, v75, v63
	v_fma_f32 v37, v76, v63, -v34
	ds_read2_b64 v[61:64], v22 offset1:160
	s_waitcnt vmcnt(3) lgkmcnt(1)
	v_mul_f32_e32 v34, v77, v66
	v_mul_f32_e32 v57, v78, v66
	v_fma_f32 v54, v78, v65, -v34
	v_fmac_f32_e32 v57, v77, v65
	s_waitcnt lgkmcnt(0)
	v_mul_f32_e32 v73, v62, v68
	v_mul_f32_e32 v34, v61, v68
	v_fmac_f32_e32 v73, v61, v67
	v_fma_f32 v62, v62, v67, -v34
	ds_read2_b64 v[65:68], v25 offset0:64 offset1:224
	s_waitcnt vmcnt(2)
	v_mul_f32_e32 v42, v64, v72
	v_fmac_f32_e32 v52, v36, v56
	v_fmac_f32_e32 v42, v63, v71
	v_mul_f32_e32 v38, v63, v72
	s_waitcnt vmcnt(1) lgkmcnt(0)
	v_mul_f32_e32 v61, v66, v82
	v_sub_f32_e32 v56, v51, v55
	v_sub_f32_e32 v63, v73, v60
	v_mul_f32_e32 v36, v80, v70
	v_mul_f32_e32 v34, v79, v70
	v_fma_f32 v41, v64, v71, -v38
	v_fmac_f32_e32 v61, v65, v81
	v_mul_f32_e32 v38, v65, v82
	v_add_f32_e32 v56, v56, v63
	v_sub_f32_e32 v63, v49, v53
	v_sub_f32_e32 v64, v62, v58
	v_fmac_f32_e32 v36, v79, v69
	v_fma_f32 v34, v80, v69, -v34
	v_fma_f32 v59, v66, v81, -v38
	v_add_f32_e32 v69, v63, v64
	v_sub_f32_e32 v63, v48, v52
	v_sub_f32_e32 v64, v61, v57
	v_add_f32_e32 v70, v63, v64
	v_sub_f32_e32 v63, v47, v50
	v_sub_f32_e32 v64, v59, v54
	v_add_f32_e32 v71, v63, v64
	v_add_f32_e32 v64, v50, v54
	;; [unrolled: 1-line block ×3, first 2 shown]
	v_fma_f32 v76, -0.5, v64, v46
	v_fma_f32 v72, -0.5, v63, v45
	v_sub_f32_e32 v77, v48, v61
	v_mov_b32_e32 v64, v76
	v_sub_f32_e32 v74, v47, v59
	v_mov_b32_e32 v63, v72
	v_fmac_f32_e32 v64, 0x3f737871, v77
	v_sub_f32_e32 v78, v52, v57
	v_fmac_f32_e32 v63, 0xbf737871, v74
	v_sub_f32_e32 v75, v50, v54
	v_fmac_f32_e32 v64, 0x3f167918, v78
	v_fmac_f32_e32 v63, 0xbf167918, v75
	;; [unrolled: 1-line block ×4, first 2 shown]
	v_mul_f32_e32 v79, 0xbf167918, v64
	v_mul_f32_e32 v80, 0x3f4f1bbd, v64
	v_fmac_f32_e32 v79, 0x3f4f1bbd, v63
	v_fmac_f32_e32 v80, 0x3f167918, v63
	ds_read2_b64 v[63:66], v20 offset1:160
	s_waitcnt vmcnt(0)
	v_mul_f32_e32 v40, v68, v84
	v_fmac_f32_e32 v40, v67, v83
	v_mul_f32_e32 v38, v67, v84
	v_mov_b32_e32 v67, 3
	v_lshlrev_b32_sdwa v44, v67, v44 dst_sel:DWORD dst_unused:UNUSED_PAD src0_sel:DWORD src1_sel:BYTE_0
	v_add3_u32 v81, 0, v43, v44
	s_waitcnt lgkmcnt(0)
	v_add_f32_e32 v43, v63, v51
	v_add_f32_e32 v43, v43, v55
	;; [unrolled: 1-line block ×5, first 2 shown]
	v_fma_f32 v38, v68, v83, -v38
	v_fma_f32 v83, -0.5, v43, v63
	v_add_f32_e32 v43, v64, v49
	v_add_f32_e32 v43, v43, v53
	;; [unrolled: 1-line block ×5, first 2 shown]
	v_fma_f32 v88, -0.5, v43, v64
	v_add_f32_e32 v43, v45, v48
	v_add_f32_e32 v43, v43, v52
	;; [unrolled: 1-line block ×3, first 2 shown]
	v_sub_f32_e32 v84, v49, v62
	v_mov_b32_e32 v85, v83
	v_sub_f32_e32 v89, v51, v73
	v_mov_b32_e32 v90, v88
	v_add_f32_e32 v92, v43, v61
	v_add_f32_e32 v43, v46, v47
	v_fmac_f32_e32 v85, 0xbf737871, v84
	v_sub_f32_e32 v86, v53, v58
	v_fmac_f32_e32 v90, 0x3f737871, v89
	v_sub_f32_e32 v91, v55, v60
	v_add_f32_e32 v43, v43, v50
	v_fmac_f32_e32 v85, 0xbf167918, v86
	v_fmac_f32_e32 v90, 0x3f167918, v91
	v_add_f32_e32 v43, v43, v54
	v_fmac_f32_e32 v85, 0x3e9e377a, v56
	v_fmac_f32_e32 v90, 0x3e9e377a, v69
	v_add_f32_e32 v93, v43, v59
	v_add_f32_e32 v43, v82, v92
	;; [unrolled: 1-line block ×5, first 2 shown]
	s_barrier
	ds_write2_b64 v81, v[43:44], v[67:68] offset1:10
	v_sub_f32_e32 v43, v55, v51
	v_add_f32_e32 v44, v51, v73
	v_sub_f32_e32 v51, v60, v73
	v_add_f32_e32 v43, v43, v51
	v_fma_f32 v51, -0.5, v44, v63
	v_mov_b32_e32 v55, v51
	v_fmac_f32_e32 v55, 0x3f737871, v86
	v_fmac_f32_e32 v51, 0xbf737871, v86
	;; [unrolled: 1-line block ×6, first 2 shown]
	v_sub_f32_e32 v43, v53, v49
	v_add_f32_e32 v44, v49, v62
	v_sub_f32_e32 v49, v58, v62
	v_add_f32_e32 v43, v43, v49
	v_fma_f32 v49, -0.5, v44, v64
	v_mov_b32_e32 v53, v49
	v_fmac_f32_e32 v53, 0xbf737871, v91
	v_fmac_f32_e32 v49, 0x3f737871, v91
	;; [unrolled: 1-line block ×6, first 2 shown]
	v_add_f32_e32 v43, v48, v61
	v_fmac_f32_e32 v45, -0.5, v43
	v_sub_f32_e32 v43, v52, v48
	v_sub_f32_e32 v44, v57, v61
	v_add_f32_e32 v43, v43, v44
	v_mov_b32_e32 v44, v45
	v_fmac_f32_e32 v44, 0x3f737871, v75
	v_fmac_f32_e32 v45, 0xbf737871, v75
	;; [unrolled: 1-line block ×6, first 2 shown]
	v_add_f32_e32 v43, v47, v59
	v_fmac_f32_e32 v46, -0.5, v43
	v_sub_f32_e32 v43, v50, v47
	v_sub_f32_e32 v47, v54, v59
	v_add_f32_e32 v43, v43, v47
	v_mov_b32_e32 v47, v46
	v_fmac_f32_e32 v47, 0xbf737871, v78
	v_fmac_f32_e32 v46, 0x3f737871, v78
	;; [unrolled: 1-line block ×10, first 2 shown]
	v_mul_f32_e32 v48, 0xbf737871, v47
	v_mul_f32_e32 v47, 0x3e9e377a, v47
	;; [unrolled: 1-line block ×4, first 2 shown]
	v_fmac_f32_e32 v83, 0x3f167918, v86
	v_fmac_f32_e32 v88, 0xbf737871, v89
	;; [unrolled: 1-line block ×11, first 2 shown]
	v_mul_f32_e32 v54, 0xbf167918, v76
	v_mul_f32_e32 v56, 0xbf4f1bbd, v76
	v_add_f32_e32 v43, v55, v48
	v_add_f32_e32 v44, v53, v47
	;; [unrolled: 1-line block ×4, first 2 shown]
	v_fmac_f32_e32 v88, 0x3e9e377a, v69
	v_fmac_f32_e32 v54, 0xbf4f1bbd, v72
	;; [unrolled: 1-line block ×3, first 2 shown]
	ds_write2_b64 v81, v[43:44], v[45:46] offset0:20 offset1:30
	v_sub_f32_e32 v43, v82, v92
	v_sub_f32_e32 v44, v87, v93
	v_add_f32_e32 v45, v83, v54
	v_add_f32_e32 v46, v88, v56
	v_add3_u32 v57, 0, v1, v2
	v_add_f32_e32 v1, v65, v31
	ds_write2_b64 v81, v[45:46], v[43:44] offset0:40 offset1:50
	v_sub_f32_e32 v43, v85, v79
	v_sub_f32_e32 v44, v90, v80
	;; [unrolled: 1-line block ×4, first 2 shown]
	v_add_f32_e32 v1, v1, v35
	ds_write2_b64 v81, v[43:44], v[45:46] offset0:60 offset1:70
	v_sub_f32_e32 v43, v51, v50
	v_sub_f32_e32 v44, v49, v52
	;; [unrolled: 1-line block ×4, first 2 shown]
	v_add_f32_e32 v1, v1, v39
	ds_write2_b64 v81, v[43:44], v[45:46] offset0:80 offset1:90
	v_sub_f32_e32 v43, v31, v35
	v_sub_f32_e32 v44, v42, v39
	v_add_f32_e32 v58, v1, v42
	v_add_f32_e32 v1, v35, v39
	;; [unrolled: 1-line block ×3, first 2 shown]
	v_sub_f32_e32 v43, v7, v33
	v_sub_f32_e32 v44, v41, v37
	v_fma_f32 v59, -0.5, v1, v65
	v_add_f32_e32 v1, v66, v7
	v_add_f32_e32 v46, v43, v44
	v_sub_f32_e32 v43, v6, v32
	v_sub_f32_e32 v44, v40, v36
	v_add_f32_e32 v1, v1, v33
	v_add_f32_e32 v47, v43, v44
	v_sub_f32_e32 v43, v5, v30
	v_sub_f32_e32 v44, v38, v34
	v_add_f32_e32 v1, v1, v37
	v_add_f32_e32 v48, v43, v44
	;; [unrolled: 1-line block ×6, first 2 shown]
	v_fma_f32 v52, -0.5, v44, v4
	v_fma_f32 v64, -0.5, v1, v66
	v_add_f32_e32 v1, v3, v6
	v_fma_f32 v49, -0.5, v43, v3
	v_sub_f32_e32 v53, v6, v40
	v_mov_b32_e32 v44, v52
	v_add_f32_e32 v1, v1, v32
	v_sub_f32_e32 v50, v5, v38
	v_mov_b32_e32 v43, v49
	v_fmac_f32_e32 v44, 0x3f737871, v53
	v_sub_f32_e32 v54, v32, v36
	v_add_f32_e32 v1, v1, v36
	v_fmac_f32_e32 v43, 0xbf737871, v50
	v_sub_f32_e32 v51, v30, v34
	v_fmac_f32_e32 v44, 0x3f167918, v54
	v_sub_f32_e32 v60, v7, v41
	v_mov_b32_e32 v61, v59
	v_sub_f32_e32 v67, v31, v42
	v_mov_b32_e32 v68, v64
	v_add_f32_e32 v70, v1, v40
	v_add_f32_e32 v1, v4, v5
	v_fmac_f32_e32 v43, 0xbf167918, v51
	v_fmac_f32_e32 v44, 0x3e9e377a, v48
	;; [unrolled: 1-line block ×3, first 2 shown]
	v_sub_f32_e32 v62, v33, v37
	v_fmac_f32_e32 v68, 0x3f737871, v67
	v_sub_f32_e32 v69, v35, v39
	v_add_f32_e32 v1, v1, v30
	v_fmac_f32_e32 v43, 0x3e9e377a, v47
	v_mul_f32_e32 v55, 0xbf167918, v44
	v_mul_f32_e32 v56, 0x3f4f1bbd, v44
	v_fmac_f32_e32 v61, 0xbf167918, v62
	v_fmac_f32_e32 v68, 0x3f167918, v69
	v_add_f32_e32 v1, v1, v34
	v_fmac_f32_e32 v55, 0x3f4f1bbd, v43
	v_fmac_f32_e32 v56, 0x3f167918, v43
	;; [unrolled: 1-line block ×4, first 2 shown]
	v_add_f32_e32 v71, v1, v38
	v_add_f32_e32 v1, v58, v70
	;; [unrolled: 1-line block ×5, first 2 shown]
	ds_write2_b64 v57, v[1:2], v[43:44] offset1:10
	v_sub_f32_e32 v1, v35, v31
	v_add_f32_e32 v2, v31, v42
	v_sub_f32_e32 v31, v39, v42
	v_add_f32_e32 v1, v1, v31
	v_fma_f32 v31, -0.5, v2, v65
	v_mov_b32_e32 v35, v31
	v_fmac_f32_e32 v35, 0x3f737871, v62
	v_fmac_f32_e32 v31, 0xbf737871, v62
	;; [unrolled: 1-line block ×6, first 2 shown]
	v_add_f32_e32 v1, v7, v41
	v_fmac_f32_e32 v66, -0.5, v1
	v_sub_f32_e32 v1, v33, v7
	v_mov_b32_e32 v7, v66
	v_sub_f32_e32 v2, v37, v41
	v_fmac_f32_e32 v7, 0xbf737871, v69
	v_fmac_f32_e32 v66, 0x3f737871, v69
	v_add_f32_e32 v1, v1, v2
	v_fmac_f32_e32 v7, 0x3f167918, v67
	v_fmac_f32_e32 v66, 0xbf167918, v67
	;; [unrolled: 1-line block ×4, first 2 shown]
	v_add_f32_e32 v1, v6, v40
	v_fmac_f32_e32 v3, -0.5, v1
	v_sub_f32_e32 v1, v32, v6
	v_sub_f32_e32 v2, v36, v40
	v_add_f32_e32 v1, v1, v2
	v_mov_b32_e32 v2, v3
	v_fmac_f32_e32 v2, 0x3f737871, v51
	v_fmac_f32_e32 v3, 0xbf737871, v51
	;; [unrolled: 1-line block ×6, first 2 shown]
	v_add_f32_e32 v1, v5, v38
	v_fmac_f32_e32 v4, -0.5, v1
	v_sub_f32_e32 v1, v30, v5
	v_sub_f32_e32 v5, v34, v38
	v_add_f32_e32 v1, v1, v5
	v_mov_b32_e32 v5, v4
	v_fmac_f32_e32 v5, 0xbf737871, v54
	v_fmac_f32_e32 v4, 0x3f737871, v54
	;; [unrolled: 1-line block ×9, first 2 shown]
	v_mul_f32_e32 v6, 0xbf737871, v5
	v_mul_f32_e32 v5, 0x3e9e377a, v5
	;; [unrolled: 1-line block ×4, first 2 shown]
	v_fmac_f32_e32 v59, 0x3f737871, v60
	v_fmac_f32_e32 v64, 0xbf737871, v67
	;; [unrolled: 1-line block ×11, first 2 shown]
	v_mul_f32_e32 v33, 0xbf167918, v52
	v_mul_f32_e32 v34, 0xbf4f1bbd, v52
	v_add_f32_e32 v1, v35, v6
	v_add_f32_e32 v2, v7, v5
	;; [unrolled: 1-line block ×4, first 2 shown]
	v_fmac_f32_e32 v59, 0x3e9e377a, v45
	v_fmac_f32_e32 v64, 0x3e9e377a, v46
	;; [unrolled: 1-line block ×4, first 2 shown]
	ds_write2_b64 v57, v[1:2], v[3:4] offset0:20 offset1:30
	v_sub_f32_e32 v1, v58, v70
	v_sub_f32_e32 v2, v63, v71
	v_add_f32_e32 v3, v59, v33
	v_add_f32_e32 v4, v64, v34
	ds_write2_b64 v57, v[3:4], v[1:2] offset0:40 offset1:50
	v_sub_f32_e32 v1, v61, v55
	v_sub_f32_e32 v2, v68, v56
	;; [unrolled: 1-line block ×4, first 2 shown]
	ds_write2_b64 v57, v[1:2], v[3:4] offset0:60 offset1:70
	v_sub_f32_e32 v2, v66, v32
	v_sub_f32_e32 v1, v31, v30
	;; [unrolled: 1-line block ×4, first 2 shown]
	ds_write2_b64 v57, v[1:2], v[3:4] offset0:80 offset1:90
	v_lshrrev_b16_e32 v1, 2, v0
	v_mul_u32_u24_e32 v1, 0x147b, v1
	v_lshrrev_b32_e32 v7, 17, v1
	v_mul_lo_u16_e32 v1, 0x64, v7
	v_sub_u16_e32 v62, v0, v1
	v_mul_u32_u24_e32 v0, 3, v62
	v_add_u32_e32 v63, 0x140, v10
	v_lshlrev_b32_e32 v48, 3, v0
	v_lshrrev_b16_e32 v0, 2, v63
	v_mul_u32_u24_e32 v0, 0x147b, v0
	v_lshrrev_b32_e32 v64, 17, v0
	v_mul_lo_u16_e32 v0, 0x64, v64
	v_sub_u16_e32 v65, v63, v0
	v_mul_u32_u24_e32 v0, 3, v65
	v_lshlrev_b32_e32 v49, 3, v0
	v_add_u16_e32 v0, 0x1e0, v10
	v_lshrrev_b16_e32 v1, 2, v0
	v_mul_u32_u24_e32 v1, 0x147b, v1
	v_lshrrev_b32_e32 v66, 17, v1
	v_mul_lo_u16_e32 v1, 0x64, v66
	v_sub_u16_e32 v67, v0, v1
	v_mul_u32_u24_e32 v0, 3, v67
	v_lshlrev_b32_e32 v50, 3, v0
	v_add_u16_e32 v0, 0x280, v10
	v_lshrrev_b16_e32 v1, 2, v0
	s_waitcnt lgkmcnt(0)
	s_barrier
	global_load_dwordx2 v[5:6], v48, s[12:13] offset:736
	global_load_dwordx2 v[54:55], v49, s[12:13] offset:736
	;; [unrolled: 1-line block ×3, first 2 shown]
	v_mul_u32_u24_e32 v1, 0x147b, v1
	v_lshrrev_b32_e32 v68, 17, v1
	v_mul_lo_u16_e32 v1, 0x64, v68
	v_sub_u16_e32 v69, v0, v1
	v_mul_u32_u24_e32 v0, 3, v69
	v_lshlrev_b32_e32 v51, 3, v0
	global_load_dwordx2 v[58:59], v51, s[12:13] offset:736
	v_add_u32_e32 v0, 0xffffff9c, v10
	v_cndmask_b32_e32 v70, v0, v10, vcc
	v_mul_i32_i24_e32 v0, 3, v70
	v_mov_b32_e32 v1, v11
	v_lshlrev_b64 v[1:2], 3, v[0:1]
	v_mov_b32_e32 v0, s13
	v_add_co_u32_e32 v46, vcc, s12, v1
	v_addc_co_u32_e32 v47, vcc, v0, v2, vcc
	global_load_dwordx2 v[60:61], v[46:47], off offset:736
	global_load_dwordx4 v[1:4], v51, s[12:13] offset:720
	global_load_dwordx4 v[30:33], v50, s[12:13] offset:720
	;; [unrolled: 1-line block ×4, first 2 shown]
	global_load_dwordx4 v[42:45], v[46:47], off offset:720
	ds_read2_b64 v[46:49], v22 offset1:160
	ds_read2_b64 v[50:53], v25 offset0:64 offset1:224
	v_cmp_lt_u32_e32 vcc, s5, v10
	v_mul_u32_u24_e32 v7, 0xc80, v7
	s_movk_i32 s5, 0x1b30
	s_waitcnt vmcnt(9) lgkmcnt(1)
	v_mul_f32_e32 v71, v47, v6
	v_mul_f32_e32 v6, v46, v6
	v_fmac_f32_e32 v71, v46, v5
	v_fma_f32 v72, v47, v5, -v6
	s_waitcnt vmcnt(8)
	v_mul_f32_e32 v73, v49, v55
	v_mul_f32_e32 v5, v48, v55
	v_fmac_f32_e32 v73, v48, v54
	v_fma_f32 v54, v49, v54, -v5
	ds_read2_b64 v[46:49], v27 offset0:64 offset1:224
	s_waitcnt vmcnt(7) lgkmcnt(1)
	v_mul_f32_e32 v55, v51, v57
	v_mul_f32_e32 v5, v50, v57
	v_fmac_f32_e32 v55, v50, v56
	v_fma_f32 v56, v51, v56, -v5
	s_waitcnt vmcnt(6)
	v_mul_f32_e32 v57, v53, v59
	v_mul_f32_e32 v5, v52, v59
	v_fmac_f32_e32 v57, v52, v58
	v_fma_f32 v52, v53, v58, -v5
	s_waitcnt vmcnt(5) lgkmcnt(0)
	v_mul_f32_e32 v53, v61, v49
	v_mul_f32_e32 v5, v61, v48
	v_fmac_f32_e32 v53, v60, v48
	v_fma_f32 v58, v60, v49, -v5
	ds_read2_b64 v[48:51], v21 offset1:160
	s_waitcnt vmcnt(4)
	v_mul_f32_e32 v59, v47, v4
	v_mul_f32_e32 v4, v46, v4
	v_fmac_f32_e32 v59, v46, v3
	v_fma_f32 v46, v47, v3, -v4
	s_waitcnt lgkmcnt(0)
	v_mul_f32_e32 v47, v51, v2
	v_mul_f32_e32 v2, v50, v2
	v_fmac_f32_e32 v47, v50, v1
	v_fma_f32 v50, v51, v1, -v2
	ds_read2_b64 v[1:4], v24 offset1:160
	s_waitcnt vmcnt(3)
	v_mul_f32_e32 v51, v49, v31
	v_mul_f32_e32 v5, v48, v31
	v_fmac_f32_e32 v51, v48, v30
	v_fma_f32 v48, v49, v30, -v5
	s_waitcnt lgkmcnt(0)
	v_mul_f32_e32 v49, v4, v33
	v_fmac_f32_e32 v49, v3, v32
	v_mul_f32_e32 v3, v3, v33
	v_fma_f32 v60, v4, v32, -v3
	ds_read2_b64 v[3:6], v26 offset0:64 offset1:224
	ds_read2_b64 v[30:33], v28 offset0:64 offset1:224
	s_waitcnt vmcnt(2)
	v_mul_f32_e32 v61, v2, v37
	v_fmac_f32_e32 v61, v1, v36
	v_mul_f32_e32 v1, v1, v37
	v_fma_f32 v74, v2, v36, -v1
	s_waitcnt lgkmcnt(1)
	v_mul_f32_e32 v1, v5, v35
	v_fma_f32 v76, v6, v34, -v1
	s_waitcnt vmcnt(1)
	v_mul_f32_e32 v1, v39, v3
	v_mul_f32_e32 v77, v39, v4
	v_fma_f32 v78, v38, v4, -v1
	s_waitcnt lgkmcnt(0)
	v_mul_f32_e32 v79, v33, v41
	v_mul_f32_e32 v1, v32, v41
	v_fmac_f32_e32 v77, v38, v3
	v_fmac_f32_e32 v79, v32, v40
	v_fma_f32 v40, v33, v40, -v1
	ds_read2_b64 v[1:4], v23 offset1:160
	v_mul_f32_e32 v75, v6, v35
	v_fmac_f32_e32 v75, v5, v34
	s_waitcnt vmcnt(0)
	v_mul_f32_e32 v5, v45, v31
	v_mul_f32_e32 v6, v45, v30
	v_fmac_f32_e32 v5, v44, v30
	v_fma_f32 v6, v44, v31, -v6
	ds_read2_b64 v[30:33], v20 offset1:160
	s_waitcnt lgkmcnt(1)
	v_mul_f32_e32 v34, v43, v4
	v_fmac_f32_e32 v34, v42, v3
	v_mul_f32_e32 v3, v43, v3
	v_fma_f32 v3, v42, v4, -v3
	s_waitcnt lgkmcnt(0)
	v_sub_f32_e32 v4, v30, v5
	v_sub_f32_e32 v5, v31, v6
	;; [unrolled: 1-line block ×4, first 2 shown]
	v_fma_f32 v34, v34, 2.0, -v6
	v_fma_f32 v3, v3, 2.0, -v36
	;; [unrolled: 1-line block ×4, first 2 shown]
	v_sub_f32_e32 v30, v35, v34
	v_sub_f32_e32 v31, v37, v3
	v_add_f32_e32 v36, v4, v36
	v_mov_b32_e32 v3, 0xc80
	v_fma_f32 v34, v35, 2.0, -v30
	v_fma_f32 v35, v37, 2.0, -v31
	v_sub_f32_e32 v37, v5, v6
	v_fma_f32 v38, v4, 2.0, -v36
	v_cndmask_b32_e32 v3, 0, v3, vcc
	v_lshlrev_b32_e32 v4, 3, v70
	v_fma_f32 v39, v5, 2.0, -v37
	v_add3_u32 v41, 0, v3, v4
	ds_read2_b64 v[3:6], v29 offset0:64 offset1:224
	s_waitcnt lgkmcnt(0)
	s_barrier
	ds_write2_b64 v41, v[34:35], v[38:39] offset1:100
	v_add_u32_e32 v34, 0x400, v41
	ds_write2_b64 v34, v[30:31], v[36:37] offset0:72 offset1:172
	v_sub_f32_e32 v36, v32, v79
	v_sub_f32_e32 v37, v33, v40
	;; [unrolled: 1-line block ×4, first 2 shown]
	v_fma_f32 v32, v32, 2.0, -v36
	v_fma_f32 v33, v33, 2.0, -v37
	;; [unrolled: 1-line block ×4, first 2 shown]
	v_sub_f32_e32 v30, v32, v30
	v_sub_f32_e32 v31, v33, v31
	v_add_f32_e32 v34, v36, v34
	v_sub_f32_e32 v35, v37, v35
	v_lshlrev_b32_e32 v38, 3, v62
	v_fma_f32 v32, v32, 2.0, -v30
	v_fma_f32 v33, v33, 2.0, -v31
	;; [unrolled: 1-line block ×4, first 2 shown]
	v_add3_u32 v7, 0, v7, v38
	ds_write2_b64 v7, v[32:33], v[36:37] offset1:100
	v_add_u32_e32 v7, 0x400, v7
	ds_write2_b64 v7, v[30:31], v[34:35] offset0:72 offset1:172
	v_sub_f32_e32 v7, v3, v61
	v_sub_f32_e32 v35, v4, v74
	;; [unrolled: 1-line block ×4, first 2 shown]
	v_fma_f32 v30, v75, 2.0, -v33
	v_fma_f32 v31, v76, 2.0, -v32
	v_fma_f32 v34, v3, 2.0, -v7
	v_fma_f32 v36, v4, 2.0, -v35
	v_sub_f32_e32 v3, v34, v30
	v_sub_f32_e32 v4, v36, v31
	v_add_f32_e32 v32, v7, v32
	v_fma_f32 v30, v34, 2.0, -v3
	v_fma_f32 v31, v36, 2.0, -v4
	v_sub_f32_e32 v33, v35, v33
	v_fma_f32 v34, v7, 2.0, -v32
	v_mul_u32_u24_e32 v7, 0xc80, v64
	v_lshlrev_b32_e32 v36, 3, v65
	v_fma_f32 v35, v35, 2.0, -v33
	v_add3_u32 v7, 0, v7, v36
	ds_write2_b64 v7, v[30:31], v[34:35] offset1:100
	v_add_u32_e32 v7, 0x400, v7
	ds_write2_b64 v7, v[3:4], v[32:33] offset0:72 offset1:172
	v_sub_f32_e32 v7, v5, v49
	v_sub_f32_e32 v33, v6, v60
	;; [unrolled: 1-line block ×4, first 2 shown]
	v_fma_f32 v5, v5, 2.0, -v7
	v_fma_f32 v6, v6, 2.0, -v33
	;; [unrolled: 1-line block ×4, first 2 shown]
	v_add_f32_e32 v30, v7, v30
	v_sub_f32_e32 v3, v5, v3
	v_sub_f32_e32 v4, v6, v4
	v_sub_f32_e32 v31, v33, v31
	v_fma_f32 v32, v7, 2.0, -v30
	v_mul_u32_u24_e32 v7, 0xc80, v66
	v_lshlrev_b32_e32 v34, 3, v67
	v_fma_f32 v5, v5, 2.0, -v3
	v_fma_f32 v6, v6, 2.0, -v4
	;; [unrolled: 1-line block ×3, first 2 shown]
	v_add3_u32 v7, 0, v7, v34
	ds_write2_b64 v7, v[5:6], v[32:33] offset1:100
	v_add_u32_e32 v5, 0x400, v7
	ds_write2_b64 v5, v[3:4], v[30:31] offset0:72 offset1:172
	v_sub_f32_e32 v7, v1, v59
	v_sub_f32_e32 v31, v2, v46
	;; [unrolled: 1-line block ×4, first 2 shown]
	v_fma_f32 v3, v1, 2.0, -v7
	v_fma_f32 v4, v2, 2.0, -v31
	;; [unrolled: 1-line block ×4, first 2 shown]
	v_add_f32_e32 v5, v7, v5
	v_sub_f32_e32 v1, v3, v1
	v_sub_f32_e32 v2, v4, v2
	;; [unrolled: 1-line block ×3, first 2 shown]
	v_fma_f32 v30, v7, 2.0, -v5
	v_mul_u32_u24_e32 v7, 0xc80, v68
	v_lshlrev_b32_e32 v32, 3, v69
	v_fma_f32 v3, v3, 2.0, -v1
	v_fma_f32 v4, v4, 2.0, -v2
	;; [unrolled: 1-line block ×3, first 2 shown]
	v_add3_u32 v7, 0, v7, v32
	ds_write2_b64 v7, v[3:4], v[30:31] offset1:100
	v_add_u32_e32 v3, 0x400, v7
	ds_write2_b64 v3, v[1:2], v[5:6] offset0:72 offset1:172
	v_mul_u32_u24_e32 v1, 3, v10
	v_lshlrev_b32_e32 v7, 3, v1
	v_add_co_u32_e32 v40, vcc, s12, v7
	v_addc_co_u32_e32 v41, vcc, 0, v0, vcc
	v_add_co_u32_e32 v1, vcc, s5, v40
	v_addc_co_u32_e32 v2, vcc, 0, v41, vcc
	s_movk_i32 s5, 0x50
	v_add_u32_e32 v42, 0x780, v7
	s_waitcnt lgkmcnt(0)
	s_barrier
	global_load_dwordx2 v[5:6], v[1:2], off offset:16
	global_load_dwordx2 v[56:57], v42, s[12:13] offset:3136
	v_add_u32_e32 v1, 0xffffffb0, v10
	v_cmp_gt_u32_e32 vcc, s5, v10
	v_cndmask_b32_e32 v62, v1, v63, vcc
	v_mul_i32_i24_e32 v1, 3, v62
	v_mov_b32_e32 v2, v11
	v_lshlrev_b64 v[1:2], 3, v[1:2]
	v_add_u32_e32 v43, 0x1680, v7
	v_add_co_u32_e32 v38, vcc, s12, v1
	v_addc_co_u32_e32 v39, vcc, v0, v2, vcc
	global_load_dwordx2 v[54:55], v[38:39], off offset:3136
	global_load_dwordx2 v[58:59], v43, s[12:13] offset:3136
	global_load_dwordx2 v[60:61], v7, s[12:13] offset:3136
	global_load_dwordx4 v[1:4], v43, s[12:13] offset:3120
	global_load_dwordx4 v[30:33], v42, s[12:13] offset:3120
	global_load_dwordx4 v[34:37], v[38:39], off offset:3120
	v_add_co_u32_e32 v46, vcc, s4, v40
	v_addc_co_u32_e32 v47, vcc, 0, v41, vcc
	global_load_dwordx4 v[38:41], v[46:47], off offset:2864
	global_load_dwordx4 v[42:45], v7, s[12:13] offset:3120
	ds_read2_b64 v[46:49], v22 offset1:160
	ds_read2_b64 v[50:53], v25 offset0:64 offset1:224
	v_add_u32_e32 v72, 0xc00, v20
	s_movk_i32 s4, 0x4f
	v_cmp_lt_u32_e32 vcc, s4, v10
	s_movk_i32 s4, 0x3000
	s_movk_i32 s5, 0x4000
	s_waitcnt vmcnt(9) lgkmcnt(1)
	v_mul_f32_e32 v7, v47, v6
	v_mul_f32_e32 v6, v46, v6
	v_fmac_f32_e32 v7, v46, v5
	v_fma_f32 v63, v47, v5, -v6
	s_waitcnt vmcnt(7)
	v_mul_f32_e32 v64, v49, v55
	v_mul_f32_e32 v5, v48, v55
	v_fmac_f32_e32 v64, v48, v54
	v_fma_f32 v54, v49, v54, -v5
	ds_read2_b64 v[46:49], v27 offset0:64 offset1:224
	s_waitcnt lgkmcnt(1)
	v_mul_f32_e32 v55, v51, v57
	v_mul_f32_e32 v5, v50, v57
	v_fmac_f32_e32 v55, v50, v56
	v_fma_f32 v56, v51, v56, -v5
	s_waitcnt vmcnt(6)
	v_mul_f32_e32 v57, v53, v59
	v_mul_f32_e32 v5, v52, v59
	v_fmac_f32_e32 v57, v52, v58
	v_fma_f32 v52, v53, v58, -v5
	s_waitcnt vmcnt(5) lgkmcnt(0)
	v_mul_f32_e32 v53, v61, v49
	v_mul_f32_e32 v5, v61, v48
	v_fmac_f32_e32 v53, v60, v48
	v_fma_f32 v58, v60, v49, -v5
	ds_read2_b64 v[48:51], v21 offset1:160
	s_waitcnt vmcnt(4)
	v_mul_f32_e32 v59, v47, v4
	v_mul_f32_e32 v4, v46, v4
	v_fmac_f32_e32 v59, v46, v3
	v_fma_f32 v46, v47, v3, -v4
	s_waitcnt lgkmcnt(0)
	v_mul_f32_e32 v47, v51, v2
	v_mul_f32_e32 v2, v50, v2
	v_fmac_f32_e32 v47, v50, v1
	v_fma_f32 v50, v51, v1, -v2
	ds_read2_b64 v[1:4], v24 offset1:160
	s_waitcnt vmcnt(3)
	v_mul_f32_e32 v51, v49, v31
	v_mul_f32_e32 v5, v48, v31
	v_fmac_f32_e32 v51, v48, v30
	v_fma_f32 v48, v49, v30, -v5
	s_waitcnt lgkmcnt(0)
	v_mul_f32_e32 v49, v4, v33
	v_fmac_f32_e32 v49, v3, v32
	v_mul_f32_e32 v3, v3, v33
	v_fma_f32 v60, v4, v32, -v3
	ds_read2_b64 v[3:6], v26 offset0:64 offset1:224
	ds_read2_b64 v[30:33], v28 offset0:64 offset1:224
	s_waitcnt vmcnt(2)
	v_mul_f32_e32 v61, v2, v37
	v_fmac_f32_e32 v61, v1, v36
	v_mul_f32_e32 v1, v1, v37
	v_fma_f32 v65, v2, v36, -v1
	s_waitcnt lgkmcnt(1)
	v_mul_f32_e32 v1, v5, v35
	v_fma_f32 v67, v6, v34, -v1
	s_waitcnt vmcnt(1)
	v_mul_f32_e32 v1, v39, v3
	v_mul_f32_e32 v68, v39, v4
	v_fma_f32 v69, v38, v4, -v1
	s_waitcnt lgkmcnt(0)
	v_mul_f32_e32 v1, v32, v41
	v_mul_f32_e32 v66, v6, v35
	v_fmac_f32_e32 v68, v38, v3
	v_fma_f32 v6, v33, v40, -v1
	ds_read2_b64 v[1:4], v23 offset1:160
	v_fmac_f32_e32 v66, v5, v34
	s_waitcnt vmcnt(0)
	v_mul_f32_e32 v34, v45, v31
	v_mul_f32_e32 v5, v33, v41
	v_fmac_f32_e32 v34, v44, v30
	v_mul_f32_e32 v30, v45, v30
	v_fmac_f32_e32 v5, v32, v40
	v_fma_f32 v35, v44, v31, -v30
	ds_read2_b64 v[30:33], v20 offset1:160
	s_waitcnt lgkmcnt(1)
	v_mul_f32_e32 v44, v43, v4
	v_fmac_f32_e32 v44, v42, v3
	v_mul_f32_e32 v3, v43, v3
	v_fma_f32 v42, v42, v4, -v3
	s_waitcnt lgkmcnt(0)
	v_sub_f32_e32 v43, v30, v34
	v_sub_f32_e32 v45, v31, v35
	;; [unrolled: 1-line block ×8, first 2 shown]
	v_add_f32_e32 v34, v43, v58
	v_sub_f32_e32 v35, v45, v53
	v_add_f32_e32 v38, v70, v63
	v_sub_f32_e32 v39, v71, v7
	v_fma_f32 v36, v43, 2.0, -v34
	v_fma_f32 v37, v45, 2.0, -v35
	v_fma_f32 v40, v70, 2.0, -v38
	v_fma_f32 v41, v71, 2.0, -v39
	ds_read2_b64 v[3:6], v29 offset0:64 offset1:224
	s_waitcnt lgkmcnt(0)
	s_barrier
	ds_write2_b64 v72, v[36:37], v[40:41] offset0:16 offset1:176
	v_add_u32_e32 v36, 0x2400, v20
	ds_write2_b64 v36, v[34:35], v[38:39] offset0:48 offset1:208
	v_fma_f32 v35, v31, 2.0, -v45
	v_fma_f32 v31, v42, 2.0, -v58
	;; [unrolled: 1-line block ×4, first 2 shown]
	v_sub_f32_e32 v31, v35, v31
	v_fma_f32 v36, v32, 2.0, -v70
	v_fma_f32 v37, v33, 2.0, -v71
	v_sub_f32_e32 v30, v34, v30
	v_fma_f32 v33, v35, 2.0, -v31
	v_fma_f32 v7, v68, 2.0, -v7
	;; [unrolled: 1-line block ×4, first 2 shown]
	v_sub_f32_e32 v34, v36, v7
	v_sub_f32_e32 v35, v37, v35
	v_add_u32_e32 v7, 0x1800, v20
	ds_write2_b64 v7, v[30:31], v[34:35] offset0:32 offset1:192
	v_fma_f32 v30, v36, 2.0, -v34
	v_fma_f32 v31, v37, 2.0, -v35
	ds_write2_b64 v20, v[32:33], v[30:31] offset1:160
	v_sub_f32_e32 v32, v5, v49
	v_sub_f32_e32 v33, v6, v60
	;; [unrolled: 1-line block ×4, first 2 shown]
	v_fma_f32 v31, v5, 2.0, -v32
	v_fma_f32 v34, v6, 2.0, -v33
	v_sub_f32_e32 v35, v1, v59
	v_sub_f32_e32 v36, v2, v46
	;; [unrolled: 1-line block ×4, first 2 shown]
	v_fma_f32 v3, v3, 2.0, -v7
	v_fma_f32 v4, v4, 2.0, -v30
	;; [unrolled: 1-line block ×6, first 2 shown]
	v_mov_b32_e32 v39, 0x3200
	v_sub_f32_e32 v1, v3, v1
	v_sub_f32_e32 v2, v4, v2
	v_cndmask_b32_e32 v39, 0, v39, vcc
	v_lshlrev_b32_e32 v40, 3, v62
	v_fma_f32 v3, v3, 2.0, -v1
	v_fma_f32 v4, v4, 2.0, -v2
	v_add3_u32 v39, 0, v39, v40
	ds_write_b64 v39, v[3:4]
	v_add_f32_e32 v3, v7, v6
	v_sub_f32_e32 v4, v30, v5
	v_fma_f32 v5, v7, 2.0, -v3
	v_fma_f32 v6, v30, 2.0, -v4
	ds_write_b64 v39, v[5:6] offset:3200
	ds_write_b64 v39, v[1:2] offset:6400
	;; [unrolled: 1-line block ×3, first 2 shown]
	v_sub_f32_e32 v39, v48, v56
	v_fma_f32 v2, v48, 2.0, -v39
	v_sub_f32_e32 v2, v34, v2
	v_sub_f32_e32 v7, v51, v55
	v_fma_f32 v4, v34, 2.0, -v2
	v_sub_f32_e32 v34, v47, v57
	v_sub_f32_e32 v40, v50, v52
	v_fma_f32 v1, v51, 2.0, -v7
	v_fma_f32 v5, v47, 2.0, -v34
	;; [unrolled: 1-line block ×3, first 2 shown]
	v_sub_f32_e32 v1, v31, v1
	v_sub_f32_e32 v5, v37, v5
	;; [unrolled: 1-line block ×3, first 2 shown]
	v_fma_f32 v3, v31, 2.0, -v1
	v_fma_f32 v30, v37, 2.0, -v5
	v_fma_f32 v31, v38, 2.0, -v6
	v_add_u32_e32 v37, 0x3400, v20
	ds_write2_b64 v37, v[3:4], v[30:31] offset0:16 offset1:176
	v_add_f32_e32 v3, v32, v39
	v_sub_f32_e32 v4, v33, v7
	v_fma_f32 v30, v32, 2.0, -v3
	v_fma_f32 v31, v33, 2.0, -v4
	v_add_f32_e32 v32, v35, v40
	v_sub_f32_e32 v33, v36, v34
	v_fma_f32 v34, v35, 2.0, -v32
	v_fma_f32 v35, v36, 2.0, -v33
	v_add_u32_e32 v7, 0x4000, v20
	ds_write2_b64 v7, v[30:31], v[34:35] offset0:32 offset1:192
	v_add_u32_e32 v7, 0x4c00, v20
	ds_write2_b64 v7, v[1:2], v[5:6] offset0:48 offset1:208
	ds_write2_b64 v25, v[3:4], v[32:33] offset0:64 offset1:224
	v_add_co_u32_e32 v1, vcc, s12, v14
	v_addc_co_u32_e32 v2, vcc, v0, v15, vcc
	v_add_co_u32_e32 v1, vcc, s4, v1
	v_addc_co_u32_e32 v2, vcc, 0, v2, vcc
	s_waitcnt lgkmcnt(0)
	s_barrier
	global_load_dwordx2 v[4:5], v[1:2], off offset:432
	v_add_co_u32_e32 v3, vcc, s12, v16
	v_addc_co_u32_e32 v7, vcc, v0, v17, vcc
	v_add_co_u32_e32 v1, vcc, s4, v3
	v_addc_co_u32_e32 v2, vcc, 0, v7, vcc
	global_load_dwordx2 v[14:15], v[1:2], off offset:1712
	global_load_dwordx2 v[16:17], v[1:2], off offset:2992
	v_add_co_u32_e32 v1, vcc, s5, v3
	v_addc_co_u32_e32 v2, vcc, 0, v7, vcc
	global_load_dwordx2 v[30:31], v[1:2], off offset:176
	global_load_dwordx2 v[32:33], v[1:2], off offset:1456
	s_movk_i32 s5, 0x5000
	global_load_dwordx2 v[34:35], v[1:2], off offset:2736
	v_add_co_u32_e32 v6, vcc, s5, v3
	v_addc_co_u32_e32 v7, vcc, 0, v7, vcc
	global_load_dwordx2 v[36:37], v[1:2], off offset:4016
	global_load_dwordx2 v[38:39], v[6:7], off offset:1200
	v_add_co_u32_e32 v1, vcc, s12, v18
	v_addc_co_u32_e32 v2, vcc, v0, v19, vcc
	v_add_co_u32_e32 v0, vcc, s4, v1
	v_addc_co_u32_e32 v1, vcc, 0, v2, vcc
	global_load_dwordx2 v[18:19], v[0:1], off offset:432
	global_load_dwordx2 v[40:41], v[6:7], off offset:3760
	ds_read2_b64 v[0:3], v28 offset0:64 offset1:224
	s_waitcnt vmcnt(9) lgkmcnt(0)
	v_mul_f32_e32 v42, v5, v1
	v_fmac_f32_e32 v42, v4, v0
	v_mul_f32_e32 v0, v5, v0
	v_fma_f32 v43, v4, v1, -v0
	ds_read2_b64 v[4:7], v24 offset1:160
	s_waitcnt vmcnt(8)
	v_mul_f32_e32 v44, v15, v3
	v_mul_f32_e32 v0, v15, v2
	v_fmac_f32_e32 v44, v14, v2
	v_fma_f32 v14, v14, v3, -v0
	s_waitcnt vmcnt(7) lgkmcnt(0)
	v_mul_f32_e32 v0, v17, v4
	v_fma_f32 v46, v16, v5, -v0
	ds_read2_b64 v[0:3], v27 offset0:64 offset1:224
	v_mul_f32_e32 v45, v17, v5
	v_fmac_f32_e32 v45, v16, v4
	s_waitcnt vmcnt(6)
	v_mul_f32_e32 v47, v31, v7
	v_mul_f32_e32 v4, v31, v6
	v_fmac_f32_e32 v47, v30, v6
	v_fma_f32 v48, v30, v7, -v4
	ds_read2_b64 v[4:7], v22 offset1:160
	s_waitcnt vmcnt(5) lgkmcnt(1)
	v_mul_f32_e32 v49, v1, v33
	v_fmac_f32_e32 v49, v0, v32
	v_mul_f32_e32 v0, v0, v33
	v_fma_f32 v50, v1, v32, -v0
	s_waitcnt vmcnt(4)
	v_mul_f32_e32 v0, v2, v35
	v_mul_f32_e32 v51, v3, v35
	v_fma_f32 v52, v3, v34, -v0
	s_waitcnt vmcnt(3) lgkmcnt(0)
	v_mul_f32_e32 v0, v4, v37
	v_fmac_f32_e32 v51, v2, v34
	v_mul_f32_e32 v53, v5, v37
	v_fma_f32 v54, v5, v36, -v0
	ds_read2_b64 v[0:3], v25 offset0:64 offset1:224
	v_fmac_f32_e32 v53, v4, v36
	s_waitcnt vmcnt(2)
	v_mul_f32_e32 v55, v7, v39
	v_mul_f32_e32 v4, v6, v39
	v_fmac_f32_e32 v55, v6, v38
	v_fma_f32 v56, v7, v38, -v4
	ds_read2_b64 v[4:7], v20 offset1:160
	s_waitcnt vmcnt(1) lgkmcnt(1)
	v_mul_f32_e32 v57, v1, v19
	v_fmac_f32_e32 v57, v0, v18
	v_mul_f32_e32 v0, v0, v19
	v_fma_f32 v58, v1, v18, -v0
	s_waitcnt vmcnt(0)
	v_mul_f32_e32 v59, v3, v41
	v_mul_f32_e32 v0, v2, v41
	s_waitcnt lgkmcnt(0)
	v_sub_f32_e32 v18, v4, v42
	v_sub_f32_e32 v19, v5, v43
	;; [unrolled: 1-line block ×4, first 2 shown]
	v_fmac_f32_e32 v59, v2, v40
	v_fma_f32 v40, v3, v40, -v0
	v_fma_f32 v36, v4, 2.0, -v18
	v_fma_f32 v37, v5, 2.0, -v19
	;; [unrolled: 1-line block ×4, first 2 shown]
	ds_read2_b64 v[0:3], v29 offset0:64 offset1:224
	ds_read2_b64 v[4:7], v23 offset1:160
	ds_read2_b64 v[14:17], v26 offset0:64 offset1:224
	ds_read2_b64 v[30:33], v21 offset1:160
	s_waitcnt lgkmcnt(0)
	s_barrier
	ds_write2_b64 v20, v[36:37], v[38:39] offset1:160
	ds_write2_b64 v28, v[18:19], v[34:35] offset0:64 offset1:224
	v_sub_f32_e32 v18, v0, v45
	v_sub_f32_e32 v19, v1, v46
	;; [unrolled: 1-line block ×4, first 2 shown]
	v_fma_f32 v0, v0, 2.0, -v18
	v_fma_f32 v1, v1, 2.0, -v19
	;; [unrolled: 1-line block ×4, first 2 shown]
	ds_write2_b64 v29, v[0:1], v[2:3] offset0:64 offset1:224
	ds_write2_b64 v24, v[18:19], v[34:35] offset1:160
	v_sub_f32_e32 v0, v4, v49
	v_sub_f32_e32 v1, v5, v50
	;; [unrolled: 1-line block ×4, first 2 shown]
	v_fma_f32 v4, v4, 2.0, -v0
	v_fma_f32 v5, v5, 2.0, -v1
	;; [unrolled: 1-line block ×4, first 2 shown]
	ds_write2_b64 v23, v[4:5], v[6:7] offset1:160
	ds_write2_b64 v27, v[0:1], v[2:3] offset0:64 offset1:224
	v_sub_f32_e32 v0, v14, v53
	v_sub_f32_e32 v1, v15, v54
	;; [unrolled: 1-line block ×4, first 2 shown]
	v_fma_f32 v4, v14, 2.0, -v0
	v_fma_f32 v5, v15, 2.0, -v1
	;; [unrolled: 1-line block ×4, first 2 shown]
	ds_write2_b64 v26, v[4:5], v[6:7] offset0:64 offset1:224
	v_sub_f32_e32 v4, v30, v57
	v_sub_f32_e32 v5, v31, v58
	;; [unrolled: 1-line block ×4, first 2 shown]
	v_fma_f32 v6, v30, 2.0, -v4
	v_fma_f32 v7, v31, 2.0, -v5
	;; [unrolled: 1-line block ×4, first 2 shown]
	ds_write2_b64 v22, v[0:1], v[2:3] offset1:160
	ds_write2_b64 v21, v[6:7], v[16:17] offset1:160
	ds_write2_b64 v25, v[4:5], v[14:15] offset0:64 offset1:224
	s_waitcnt lgkmcnt(0)
	s_barrier
	s_and_saveexec_b64 s[4:5], s[0:1]
	s_cbranch_execz .LBB0_21
; %bb.20:
	v_mul_lo_u32 v0, s3, v12
	v_mul_lo_u32 v1, s2, v13
	v_mad_u64_u32 v[4:5], s[0:1], s2, v12, 0
	v_mov_b32_e32 v7, s11
	v_lshl_add_u32 v6, v10, 3, 0
	v_add3_u32 v5, v5, v1, v0
	v_lshlrev_b64 v[4:5], 3, v[4:5]
	ds_read2_b64 v[0:3], v6 offset1:160
	v_add_co_u32_e32 v12, vcc, s10, v4
	v_addc_co_u32_e32 v7, vcc, v7, v5, vcc
	v_lshlrev_b64 v[4:5], 3, v[8:9]
	v_add_co_u32_e32 v8, vcc, v12, v4
	v_addc_co_u32_e32 v7, vcc, v7, v5, vcc
	v_lshlrev_b64 v[4:5], 3, v[10:11]
	v_add_co_u32_e32 v4, vcc, v8, v4
	v_addc_co_u32_e32 v5, vcc, v7, v5, vcc
	s_waitcnt lgkmcnt(0)
	global_store_dwordx2 v[4:5], v[0:1], off
	v_add_u32_e32 v0, 0xa0, v10
	v_mov_b32_e32 v1, v11
	v_lshlrev_b64 v[0:1], 3, v[0:1]
	v_add_u32_e32 v4, 0x140, v10
	v_add_co_u32_e32 v0, vcc, v8, v0
	v_addc_co_u32_e32 v1, vcc, v7, v1, vcc
	global_store_dwordx2 v[0:1], v[2:3], off
	v_add_u32_e32 v0, 0x800, v6
	v_mov_b32_e32 v5, v11
	ds_read2_b64 v[0:3], v0 offset0:64 offset1:224
	v_lshlrev_b64 v[4:5], 3, v[4:5]
	v_add_co_u32_e32 v4, vcc, v8, v4
	v_addc_co_u32_e32 v5, vcc, v7, v5, vcc
	s_waitcnt lgkmcnt(0)
	global_store_dwordx2 v[4:5], v[0:1], off
	v_add_u32_e32 v0, 0x1e0, v10
	v_mov_b32_e32 v1, v11
	v_lshlrev_b64 v[0:1], 3, v[0:1]
	v_add_u32_e32 v4, 0x280, v10
	v_add_co_u32_e32 v0, vcc, v8, v0
	v_addc_co_u32_e32 v1, vcc, v7, v1, vcc
	global_store_dwordx2 v[0:1], v[2:3], off
	v_add_u32_e32 v0, 0x1400, v6
	v_mov_b32_e32 v5, v11
	ds_read2_b64 v[0:3], v0 offset1:160
	v_lshlrev_b64 v[4:5], 3, v[4:5]
	v_add_co_u32_e32 v4, vcc, v8, v4
	v_addc_co_u32_e32 v5, vcc, v7, v5, vcc
	s_waitcnt lgkmcnt(0)
	global_store_dwordx2 v[4:5], v[0:1], off
	v_add_u32_e32 v0, 0x320, v10
	v_mov_b32_e32 v1, v11
	v_lshlrev_b64 v[0:1], 3, v[0:1]
	v_add_u32_e32 v4, 0x3c0, v10
	v_add_co_u32_e32 v0, vcc, v8, v0
	v_addc_co_u32_e32 v1, vcc, v7, v1, vcc
	global_store_dwordx2 v[0:1], v[2:3], off
	v_add_u32_e32 v0, 0x1c00, v6
	v_mov_b32_e32 v5, v11
	ds_read2_b64 v[0:3], v0 offset0:64 offset1:224
	v_lshlrev_b64 v[4:5], 3, v[4:5]
	v_add_co_u32_e32 v4, vcc, v8, v4
	v_addc_co_u32_e32 v5, vcc, v7, v5, vcc
	s_waitcnt lgkmcnt(0)
	global_store_dwordx2 v[4:5], v[0:1], off
	v_add_u32_e32 v0, 0x460, v10
	v_mov_b32_e32 v1, v11
	v_lshlrev_b64 v[0:1], 3, v[0:1]
	v_add_u32_e32 v4, 0x500, v10
	v_add_co_u32_e32 v0, vcc, v8, v0
	v_addc_co_u32_e32 v1, vcc, v7, v1, vcc
	global_store_dwordx2 v[0:1], v[2:3], off
	v_add_u32_e32 v0, 0x2800, v6
	v_mov_b32_e32 v5, v11
	ds_read2_b64 v[0:3], v0 offset1:160
	;; [unrolled: 30-line block ×4, first 2 shown]
	v_lshlrev_b64 v[4:5], 3, v[4:5]
	v_add_co_u32_e32 v4, vcc, v8, v4
	v_addc_co_u32_e32 v5, vcc, v7, v5, vcc
	s_waitcnt lgkmcnt(0)
	global_store_dwordx2 v[4:5], v[0:1], off
	v_add_u32_e32 v0, 0xaa0, v10
	v_mov_b32_e32 v1, v11
	v_lshlrev_b64 v[0:1], 3, v[0:1]
	v_add_u32_e32 v4, 0xb40, v10
	v_add_co_u32_e32 v0, vcc, v8, v0
	v_addc_co_u32_e32 v1, vcc, v7, v1, vcc
	global_store_dwordx2 v[0:1], v[2:3], off
	v_add_u32_e32 v0, 0x5800, v6
	v_mov_b32_e32 v5, v11
	ds_read2_b64 v[0:3], v0 offset0:64 offset1:224
	v_lshlrev_b64 v[4:5], 3, v[4:5]
	v_add_u32_e32 v10, 0xbe0, v10
	v_add_co_u32_e32 v4, vcc, v8, v4
	v_addc_co_u32_e32 v5, vcc, v7, v5, vcc
	s_waitcnt lgkmcnt(0)
	global_store_dwordx2 v[4:5], v[0:1], off
	v_lshlrev_b64 v[0:1], 3, v[10:11]
	v_add_co_u32_e32 v0, vcc, v8, v0
	v_addc_co_u32_e32 v1, vcc, v7, v1, vcc
	global_store_dwordx2 v[0:1], v[2:3], off
.LBB0_21:
	s_endpgm
	.section	.rodata,"a",@progbits
	.p2align	6, 0x0
	.amdhsa_kernel fft_rtc_back_len3200_factors_10_10_4_4_2_wgs_160_tpt_160_halfLds_sp_op_CI_CI_unitstride_sbrr_C2R_dirReg
		.amdhsa_group_segment_fixed_size 0
		.amdhsa_private_segment_fixed_size 0
		.amdhsa_kernarg_size 104
		.amdhsa_user_sgpr_count 6
		.amdhsa_user_sgpr_private_segment_buffer 1
		.amdhsa_user_sgpr_dispatch_ptr 0
		.amdhsa_user_sgpr_queue_ptr 0
		.amdhsa_user_sgpr_kernarg_segment_ptr 1
		.amdhsa_user_sgpr_dispatch_id 0
		.amdhsa_user_sgpr_flat_scratch_init 0
		.amdhsa_user_sgpr_private_segment_size 0
		.amdhsa_uses_dynamic_stack 0
		.amdhsa_system_sgpr_private_segment_wavefront_offset 0
		.amdhsa_system_sgpr_workgroup_id_x 1
		.amdhsa_system_sgpr_workgroup_id_y 0
		.amdhsa_system_sgpr_workgroup_id_z 0
		.amdhsa_system_sgpr_workgroup_info 0
		.amdhsa_system_vgpr_workitem_id 0
		.amdhsa_next_free_vgpr 94
		.amdhsa_next_free_sgpr 28
		.amdhsa_reserve_vcc 1
		.amdhsa_reserve_flat_scratch 0
		.amdhsa_float_round_mode_32 0
		.amdhsa_float_round_mode_16_64 0
		.amdhsa_float_denorm_mode_32 3
		.amdhsa_float_denorm_mode_16_64 3
		.amdhsa_dx10_clamp 1
		.amdhsa_ieee_mode 1
		.amdhsa_fp16_overflow 0
		.amdhsa_exception_fp_ieee_invalid_op 0
		.amdhsa_exception_fp_denorm_src 0
		.amdhsa_exception_fp_ieee_div_zero 0
		.amdhsa_exception_fp_ieee_overflow 0
		.amdhsa_exception_fp_ieee_underflow 0
		.amdhsa_exception_fp_ieee_inexact 0
		.amdhsa_exception_int_div_zero 0
	.end_amdhsa_kernel
	.text
.Lfunc_end0:
	.size	fft_rtc_back_len3200_factors_10_10_4_4_2_wgs_160_tpt_160_halfLds_sp_op_CI_CI_unitstride_sbrr_C2R_dirReg, .Lfunc_end0-fft_rtc_back_len3200_factors_10_10_4_4_2_wgs_160_tpt_160_halfLds_sp_op_CI_CI_unitstride_sbrr_C2R_dirReg
                                        ; -- End function
	.section	.AMDGPU.csdata,"",@progbits
; Kernel info:
; codeLenInByte = 12532
; NumSgprs: 32
; NumVgprs: 94
; ScratchSize: 0
; MemoryBound: 0
; FloatMode: 240
; IeeeMode: 1
; LDSByteSize: 0 bytes/workgroup (compile time only)
; SGPRBlocks: 3
; VGPRBlocks: 23
; NumSGPRsForWavesPerEU: 32
; NumVGPRsForWavesPerEU: 94
; Occupancy: 2
; WaveLimiterHint : 1
; COMPUTE_PGM_RSRC2:SCRATCH_EN: 0
; COMPUTE_PGM_RSRC2:USER_SGPR: 6
; COMPUTE_PGM_RSRC2:TRAP_HANDLER: 0
; COMPUTE_PGM_RSRC2:TGID_X_EN: 1
; COMPUTE_PGM_RSRC2:TGID_Y_EN: 0
; COMPUTE_PGM_RSRC2:TGID_Z_EN: 0
; COMPUTE_PGM_RSRC2:TIDIG_COMP_CNT: 0
	.type	__hip_cuid_fe97dd20b296468e,@object ; @__hip_cuid_fe97dd20b296468e
	.section	.bss,"aw",@nobits
	.globl	__hip_cuid_fe97dd20b296468e
__hip_cuid_fe97dd20b296468e:
	.byte	0                               ; 0x0
	.size	__hip_cuid_fe97dd20b296468e, 1

	.ident	"AMD clang version 19.0.0git (https://github.com/RadeonOpenCompute/llvm-project roc-6.4.0 25133 c7fe45cf4b819c5991fe208aaa96edf142730f1d)"
	.section	".note.GNU-stack","",@progbits
	.addrsig
	.addrsig_sym __hip_cuid_fe97dd20b296468e
	.amdgpu_metadata
---
amdhsa.kernels:
  - .args:
      - .actual_access:  read_only
        .address_space:  global
        .offset:         0
        .size:           8
        .value_kind:     global_buffer
      - .offset:         8
        .size:           8
        .value_kind:     by_value
      - .actual_access:  read_only
        .address_space:  global
        .offset:         16
        .size:           8
        .value_kind:     global_buffer
      - .actual_access:  read_only
        .address_space:  global
        .offset:         24
        .size:           8
        .value_kind:     global_buffer
      - .actual_access:  read_only
        .address_space:  global
        .offset:         32
        .size:           8
        .value_kind:     global_buffer
      - .offset:         40
        .size:           8
        .value_kind:     by_value
      - .actual_access:  read_only
        .address_space:  global
        .offset:         48
        .size:           8
        .value_kind:     global_buffer
      - .actual_access:  read_only
        .address_space:  global
        .offset:         56
        .size:           8
        .value_kind:     global_buffer
      - .offset:         64
        .size:           4
        .value_kind:     by_value
      - .actual_access:  read_only
        .address_space:  global
        .offset:         72
        .size:           8
        .value_kind:     global_buffer
      - .actual_access:  read_only
        .address_space:  global
        .offset:         80
        .size:           8
        .value_kind:     global_buffer
      - .actual_access:  read_only
        .address_space:  global
        .offset:         88
        .size:           8
        .value_kind:     global_buffer
      - .actual_access:  write_only
        .address_space:  global
        .offset:         96
        .size:           8
        .value_kind:     global_buffer
    .group_segment_fixed_size: 0
    .kernarg_segment_align: 8
    .kernarg_segment_size: 104
    .language:       OpenCL C
    .language_version:
      - 2
      - 0
    .max_flat_workgroup_size: 160
    .name:           fft_rtc_back_len3200_factors_10_10_4_4_2_wgs_160_tpt_160_halfLds_sp_op_CI_CI_unitstride_sbrr_C2R_dirReg
    .private_segment_fixed_size: 0
    .sgpr_count:     32
    .sgpr_spill_count: 0
    .symbol:         fft_rtc_back_len3200_factors_10_10_4_4_2_wgs_160_tpt_160_halfLds_sp_op_CI_CI_unitstride_sbrr_C2R_dirReg.kd
    .uniform_work_group_size: 1
    .uses_dynamic_stack: false
    .vgpr_count:     94
    .vgpr_spill_count: 0
    .wavefront_size: 64
amdhsa.target:   amdgcn-amd-amdhsa--gfx906
amdhsa.version:
  - 1
  - 2
...

	.end_amdgpu_metadata
